;; amdgpu-corpus repo=ROCm/rocSPARSE kind=compiled arch=gfx906 opt=O3
	.amdgcn_target "amdgcn-amd-amdhsa--gfx906"
	.amdhsa_code_object_version 6
	.section	.text._ZN9rocsparseL31gebsrmm_general_blockdim_kernelILi32ELi32EfEEv20rocsparse_direction_20rocsparse_operation_iiNS_24const_host_device_scalarIT1_EEPKiS7_PKS4_iiS9_lS5_PS4_l21rocsparse_index_base_b,"axG",@progbits,_ZN9rocsparseL31gebsrmm_general_blockdim_kernelILi32ELi32EfEEv20rocsparse_direction_20rocsparse_operation_iiNS_24const_host_device_scalarIT1_EEPKiS7_PKS4_iiS9_lS5_PS4_l21rocsparse_index_base_b,comdat
	.globl	_ZN9rocsparseL31gebsrmm_general_blockdim_kernelILi32ELi32EfEEv20rocsparse_direction_20rocsparse_operation_iiNS_24const_host_device_scalarIT1_EEPKiS7_PKS4_iiS9_lS5_PS4_l21rocsparse_index_base_b ; -- Begin function _ZN9rocsparseL31gebsrmm_general_blockdim_kernelILi32ELi32EfEEv20rocsparse_direction_20rocsparse_operation_iiNS_24const_host_device_scalarIT1_EEPKiS7_PKS4_iiS9_lS5_PS4_l21rocsparse_index_base_b
	.p2align	8
	.type	_ZN9rocsparseL31gebsrmm_general_blockdim_kernelILi32ELi32EfEEv20rocsparse_direction_20rocsparse_operation_iiNS_24const_host_device_scalarIT1_EEPKiS7_PKS4_iiS9_lS5_PS4_l21rocsparse_index_base_b,@function
_ZN9rocsparseL31gebsrmm_general_blockdim_kernelILi32ELi32EfEEv20rocsparse_direction_20rocsparse_operation_iiNS_24const_host_device_scalarIT1_EEPKiS7_PKS4_iiS9_lS5_PS4_l21rocsparse_index_base_b: ; @_ZN9rocsparseL31gebsrmm_general_blockdim_kernelILi32ELi32EfEEv20rocsparse_direction_20rocsparse_operation_iiNS_24const_host_device_scalarIT1_EEPKiS7_PKS4_iiS9_lS5_PS4_l21rocsparse_index_base_b
; %bb.0:
	s_load_dwordx2 s[24:25], s[4:5], 0x60
	s_load_dwordx2 s[26:27], s[4:5], 0x10
	s_load_dwordx4 s[8:11], s[4:5], 0x40
	s_waitcnt lgkmcnt(0)
	s_bitcmp1_b32 s25, 0
	s_cselect_b64 s[2:3], -1, 0
	s_xor_b64 s[0:1], s[2:3], -1
	s_and_b64 vcc, exec, s[2:3]
	s_cbranch_vccnz .LBB0_2
; %bb.1:
	s_load_dword s26, s[26:27], 0x0
.LBB0_2:
	s_andn2_b64 vcc, exec, s[0:1]
	s_cbranch_vccnz .LBB0_4
; %bb.3:
	s_load_dword s10, s[10:11], 0x0
.LBB0_4:
	s_waitcnt lgkmcnt(0)
	v_cmp_eq_f32_e64 s[0:1], s26, 0
	v_cmp_eq_f32_e64 s[2:3], s10, 1.0
	s_and_b64 s[0:1], s[0:1], s[2:3]
	s_mov_b32 s11, 0
	s_and_b64 vcc, exec, s[0:1]
	s_cbranch_vccnz .LBB0_47
; %bb.5:
	s_load_dwordx4 s[16:19], s[4:5], 0x0
	s_mov_b32 s25, 0
	s_waitcnt lgkmcnt(0)
	s_cmp_lt_i32 s6, s18
	s_cselect_b64 s[2:3], -1, 0
	s_cmp_ge_i32 s6, s18
	s_cbranch_scc1 .LBB0_7
; %bb.6:
	s_load_dwordx2 s[12:13], s[4:5], 0x18
	s_mov_b32 s0, s7
	s_ashr_i32 s7, s6, 31
	s_lshl_b64 s[14:15], s[6:7], 2
	s_mov_b32 s7, s0
	s_waitcnt lgkmcnt(0)
	s_add_u32 s0, s12, s14
	s_addc_u32 s1, s13, s15
	s_load_dwordx2 s[12:13], s[0:1], 0x0
	s_waitcnt lgkmcnt(0)
	s_sub_i32 s25, s12, s24
	s_sub_i32 s11, s13, s24
.LBB0_7:
	s_load_dwordx2 s[28:29], s[4:5], 0x30
	s_waitcnt lgkmcnt(0)
	s_cmp_lt_i32 s28, 1
	s_cbranch_scc1 .LBB0_47
; %bb.8:
	s_load_dwordx4 s[20:23], s[4:5], 0x50
	v_lshl_add_u32 v2, s7, 5, v1
	v_ashrrev_i32_e32 v3, 31, v2
	s_load_dwordx4 s[12:15], s[4:5], 0x20
	s_load_dwordx2 s[30:31], s[4:5], 0x38
	v_mul_lo_u32 v8, s8, v3
	s_waitcnt lgkmcnt(0)
	v_mul_lo_u32 v6, s22, v3
	v_mul_lo_u32 v7, s23, v2
	v_mad_u64_u32 v[4:5], s[0:1], s22, v2, 0
	v_mul_lo_u32 v9, s9, v2
	v_mad_u64_u32 v[10:11], s[0:1], s8, v2, 0
	v_add3_u32 v5, v5, v6, v7
	v_lshlrev_b64 v[6:7], 2, v[2:3]
	v_add3_u32 v11, v11, v8, v9
	v_mov_b32_e32 v3, s31
	v_add_co_u32_e32 v6, vcc, s30, v6
	s_cmp_lt_i32 s25, s11
	v_addc_co_u32_e32 v7, vcc, v3, v7, vcc
	v_cmp_gt_i32_e64 s[0:1], s19, v2
	v_lshlrev_b64 v[2:3], 2, v[10:11]
	s_cselect_b64 s[4:5], -1, 0
	s_cmp_gt_i32 s29, 0
	s_mul_i32 s27, s28, s6
	s_cselect_b64 s[6:7], -1, 0
	s_cmpk_lg_i32 s17, 0x6f
	v_mov_b32_e32 v11, s31
	v_add_co_u32_e32 v10, vcc, s30, v2
	s_cselect_b64 s[22:23], -1, 0
	v_addc_co_u32_e32 v11, vcc, v11, v3, vcc
	s_cmp_lg_u32 s16, 0
	v_lshlrev_b64 v[2:3], 2, v[4:5]
	s_cselect_b64 s[16:17], -1, 0
	s_and_b64 s[18:19], s[2:3], s[0:1]
	s_mul_i32 s2, s25, s28
	v_mov_b32_e32 v4, s21
	v_add_co_u32_e32 v12, vcc, s20, v2
	v_add_u32_e32 v2, s2, v0
	v_addc_co_u32_e32 v13, vcc, v4, v3, vcc
	v_mad_u64_u32 v[2:3], s[2:3], s29, v2, v[1:2]
	v_lshlrev_b32_e32 v8, 2, v0
	v_cndmask_b32_e64 v3, 0, 1, s[4:5]
	v_or_b32_e32 v14, 0x1000, v8
	v_lshlrev_b32_e32 v9, 7, v1
	v_cmp_ne_u32_e64 s[2:3], 1, v3
	v_cndmask_b32_e64 v3, 0, 1, s[6:7]
	s_mov_b32 s33, 0
	v_cmp_neq_f32_e64 s[30:31], s10, 0
	s_lshl_b32 s42, s29, 5
	s_mul_i32 s43, s29, s28
	v_cmp_ne_u32_e64 s[4:5], 1, v3
	v_add_u32_e32 v14, v14, v9
	s_branch .LBB0_10
.LBB0_9:                                ;   in Loop: Header=BB0_10 Depth=1
	s_or_b64 exec, exec, s[6:7]
	s_add_i32 s33, s33, 32
	s_cmp_lt_i32 s33, s28
	v_add_u32_e32 v2, s42, v2
	s_cbranch_scc0 .LBB0_47
.LBB0_10:                               ; =>This Loop Header: Depth=1
                                        ;     Child Loop BB0_13 Depth 2
                                        ;       Child Loop BB0_16 Depth 3
	v_add_u32_e32 v3, s33, v0
	v_mov_b32_e32 v15, 0
	s_and_b64 vcc, exec, s[2:3]
	v_cmp_gt_i32_e64 s[6:7], s28, v3
	s_cbranch_vccnz .LBB0_42
; %bb.11:                               ;   in Loop: Header=BB0_10 Depth=1
	v_mov_b32_e32 v15, 0
	v_mov_b32_e32 v16, v2
	s_mov_b32 s20, s25
	s_branch .LBB0_13
.LBB0_12:                               ;   in Loop: Header=BB0_13 Depth=2
	s_add_i32 s20, s20, 1
	s_cmp_ge_i32 s20, s11
	v_add_u32_e32 v16, s43, v16
	s_cbranch_scc1 .LBB0_42
.LBB0_13:                               ;   Parent Loop BB0_10 Depth=1
                                        ; =>  This Loop Header: Depth=2
                                        ;       Child Loop BB0_16 Depth 3
	s_and_b64 vcc, exec, s[4:5]
	s_cbranch_vccnz .LBB0_12
; %bb.14:                               ;   in Loop: Header=BB0_13 Depth=2
	s_ashr_i32 s21, s20, 31
	s_lshl_b64 s[34:35], s[20:21], 2
	s_add_u32 s34, s12, s34
	s_addc_u32 s35, s13, s35
	s_load_dword s34, s[34:35], 0x0
	s_mul_i32 s21, s20, s29
	s_mov_b32 s44, 0
	s_waitcnt lgkmcnt(0)
	s_sub_i32 s34, s34, s24
	s_mul_i32 s34, s34, s29
	v_add_u32_e32 v17, s34, v0
	s_branch .LBB0_16
.LBB0_15:                               ;   in Loop: Header=BB0_16 Depth=3
	s_or_b64 exec, exec, s[36:37]
	v_add_u32_e32 v4, v8, v9
	s_waitcnt vmcnt(0)
	ds_write_b32 v4, v5
	s_waitcnt lgkmcnt(0)
	s_barrier
	ds_read2_b32 v[4:5], v8 offset1:32
	ds_read_b128 v[18:21], v9 offset:4096
	ds_read_b128 v[22:25], v9 offset:4112
	ds_read2_b32 v[34:35], v8 offset0:64 offset1:96
	ds_read_b128 v[26:29], v9 offset:4128
	ds_read_b128 v[30:33], v9 offset:4144
	ds_read2_b32 v[36:37], v8 offset0:128 offset1:160
	s_waitcnt lgkmcnt(5)
	v_fmac_f32_e32 v15, v4, v18
	v_fmac_f32_e32 v15, v5, v19
	ds_read2_b32 v[4:5], v8 offset0:192 offset1:224
	s_waitcnt lgkmcnt(4)
	v_fmac_f32_e32 v15, v34, v20
	v_fmac_f32_e32 v15, v35, v21
	s_waitcnt lgkmcnt(1)
	v_fmac_f32_e32 v15, v36, v22
	v_add_u32_e32 v22, 0x400, v8
	ds_read2_b32 v[18:19], v22 offset1:32
	v_fmac_f32_e32 v15, v37, v23
	s_waitcnt lgkmcnt(1)
	v_fmac_f32_e32 v15, v4, v24
	v_fmac_f32_e32 v15, v5, v25
	ds_read2_b32 v[4:5], v22 offset0:64 offset1:96
	ds_read2_b32 v[20:21], v22 offset0:128 offset1:160
	s_waitcnt lgkmcnt(2)
	v_fmac_f32_e32 v15, v18, v26
	v_fmac_f32_e32 v15, v19, v27
	ds_read2_b32 v[22:23], v22 offset0:192 offset1:224
	s_waitcnt lgkmcnt(2)
	v_fmac_f32_e32 v15, v4, v28
	v_fmac_f32_e32 v15, v5, v29
	s_waitcnt lgkmcnt(1)
	v_fmac_f32_e32 v15, v20, v30
	v_add_u32_e32 v30, 0x800, v8
	v_fmac_f32_e32 v15, v21, v31
	ds_read2_b32 v[4:5], v30 offset1:32
	ds_read_b128 v[18:21], v9 offset:4160
	s_waitcnt lgkmcnt(2)
	v_fmac_f32_e32 v15, v22, v32
	v_fmac_f32_e32 v15, v23, v33
	ds_read2_b32 v[26:27], v30 offset0:64 offset1:96
	ds_read2_b32 v[28:29], v30 offset0:128 offset1:160
	ds_read_b128 v[22:25], v9 offset:4176
	s_add_i32 s44, s44, 32
	s_waitcnt lgkmcnt(3)
	v_fmac_f32_e32 v15, v4, v18
	v_fmac_f32_e32 v15, v5, v19
	ds_read2_b32 v[4:5], v30 offset0:192 offset1:224
	s_waitcnt lgkmcnt(3)
	v_fmac_f32_e32 v15, v26, v20
	v_fmac_f32_e32 v15, v27, v21
	v_add_u32_e32 v30, 0xc00, v8
	s_waitcnt lgkmcnt(1)
	v_fmac_f32_e32 v15, v28, v22
	ds_read2_b32 v[26:27], v30 offset1:32
	ds_read_b128 v[18:21], v9 offset:4192
	v_fmac_f32_e32 v15, v29, v23
	s_waitcnt lgkmcnt(2)
	v_fmac_f32_e32 v15, v4, v24
	v_fmac_f32_e32 v15, v5, v25
	ds_read2_b32 v[4:5], v30 offset0:64 offset1:96
	ds_read_b128 v[22:25], v9 offset:4208
	ds_read2_b32 v[28:29], v30 offset0:128 offset1:160
	s_waitcnt lgkmcnt(3)
	v_fmac_f32_e32 v15, v26, v18
	v_fmac_f32_e32 v15, v27, v19
	ds_read2_b32 v[18:19], v30 offset0:192 offset1:224
	s_waitcnt lgkmcnt(3)
	v_fmac_f32_e32 v15, v4, v20
	v_fmac_f32_e32 v15, v5, v21
	s_waitcnt lgkmcnt(1)
	v_fmac_f32_e32 v15, v28, v22
	v_fmac_f32_e32 v15, v29, v23
	;; [unrolled: 3-line block ×3, first 2 shown]
	s_cmp_ge_i32 s44, s29
	s_barrier
	s_cbranch_scc1 .LBB0_12
.LBB0_16:                               ;   Parent Loop BB0_10 Depth=1
                                        ;     Parent Loop BB0_13 Depth=2
                                        ; =>    This Inner Loop Header: Depth=3
	s_mov_b64 s[34:35], -1
	s_and_b64 vcc, exec, s[22:23]
                                        ; implicit-def: $vgpr4
	s_cbranch_vccnz .LBB0_25
; %bb.17:                               ;   in Loop: Header=BB0_16 Depth=3
	s_andn2_b64 vcc, exec, s[34:35]
	s_cbranch_vccz .LBB0_30
.LBB0_18:                               ;   in Loop: Header=BB0_16 Depth=3
	s_and_b64 vcc, exec, s[16:17]
	s_waitcnt vmcnt(0)
	ds_write_b32 v14, v4
	s_cbranch_vccz .LBB0_35
.LBB0_19:                               ;   in Loop: Header=BB0_16 Depth=3
	s_mov_b64 s[36:37], 0
	s_mov_b64 s[34:35], 0
                                        ; implicit-def: $vgpr4
	s_and_saveexec_b64 s[38:39], s[6:7]
	s_cbranch_execz .LBB0_23
; %bb.20:                               ;   in Loop: Header=BB0_16 Depth=3
	v_add_u32_e32 v5, s44, v1
	v_cmp_gt_i32_e32 vcc, s29, v5
                                        ; implicit-def: $vgpr4
	s_and_saveexec_b64 s[40:41], vcc
	s_xor_b64 s[40:41], exec, s[40:41]
; %bb.21:                               ;   in Loop: Header=BB0_16 Depth=3
	v_add_u32_e32 v4, s21, v5
	s_mov_b64 s[34:35], exec
	v_mad_u64_u32 v[4:5], s[46:47], v4, s28, v[3:4]
; %bb.22:                               ;   in Loop: Header=BB0_16 Depth=3
	s_or_b64 exec, exec, s[40:41]
	s_and_b64 s[34:35], s[34:35], exec
.LBB0_23:                               ;   in Loop: Header=BB0_16 Depth=3
	s_or_b64 exec, exec, s[38:39]
	s_and_b64 vcc, exec, s[36:37]
	s_cbranch_vccnz .LBB0_36
.LBB0_24:                               ;   in Loop: Header=BB0_16 Depth=3
	v_mov_b32_e32 v5, 0
	s_and_saveexec_b64 s[36:37], s[34:35]
	s_cbranch_execz .LBB0_15
	s_branch .LBB0_41
.LBB0_25:                               ;   in Loop: Header=BB0_16 Depth=3
	v_mov_b32_e32 v4, 0
	s_and_saveexec_b64 s[34:35], s[0:1]
	s_cbranch_execz .LBB0_29
; %bb.26:                               ;   in Loop: Header=BB0_16 Depth=3
	v_add_u32_e32 v4, s44, v0
	v_cmp_gt_i32_e32 vcc, s29, v4
	v_mov_b32_e32 v4, 0
	s_and_saveexec_b64 s[36:37], vcc
	s_cbranch_execz .LBB0_28
; %bb.27:                               ;   in Loop: Header=BB0_16 Depth=3
	v_add_u32_e32 v4, s44, v17
	v_ashrrev_i32_e32 v18, 31, v4
	v_mul_lo_u32 v19, s9, v4
	v_mad_u64_u32 v[4:5], s[38:39], s8, v4, 0
	v_mul_lo_u32 v18, s8, v18
	v_add3_u32 v5, v5, v18, v19
	v_lshlrev_b64 v[4:5], 2, v[4:5]
	v_add_co_u32_e32 v4, vcc, v6, v4
	v_addc_co_u32_e32 v5, vcc, v7, v5, vcc
	global_load_dword v4, v[4:5], off
.LBB0_28:                               ;   in Loop: Header=BB0_16 Depth=3
	s_or_b64 exec, exec, s[36:37]
.LBB0_29:                               ;   in Loop: Header=BB0_16 Depth=3
	s_or_b64 exec, exec, s[34:35]
	s_cbranch_execnz .LBB0_18
.LBB0_30:                               ;   in Loop: Header=BB0_16 Depth=3
	s_waitcnt vmcnt(0)
	v_mov_b32_e32 v4, 0
	s_and_saveexec_b64 s[34:35], s[0:1]
	s_cbranch_execz .LBB0_34
; %bb.31:                               ;   in Loop: Header=BB0_16 Depth=3
	v_add_u32_e32 v4, s44, v0
	v_cmp_gt_i32_e32 vcc, s29, v4
	v_mov_b32_e32 v4, 0
	s_and_saveexec_b64 s[36:37], vcc
	s_cbranch_execz .LBB0_33
; %bb.32:                               ;   in Loop: Header=BB0_16 Depth=3
	v_add_u32_e32 v4, s44, v17
	v_ashrrev_i32_e32 v5, 31, v4
	v_lshlrev_b64 v[4:5], 2, v[4:5]
	v_add_co_u32_e32 v4, vcc, v10, v4
	v_addc_co_u32_e32 v5, vcc, v11, v5, vcc
	global_load_dword v4, v[4:5], off
.LBB0_33:                               ;   in Loop: Header=BB0_16 Depth=3
	s_or_b64 exec, exec, s[36:37]
.LBB0_34:                               ;   in Loop: Header=BB0_16 Depth=3
	s_or_b64 exec, exec, s[34:35]
	s_and_b64 vcc, exec, s[16:17]
	s_waitcnt vmcnt(0)
	ds_write_b32 v14, v4
	s_cbranch_vccnz .LBB0_19
.LBB0_35:                               ;   in Loop: Header=BB0_16 Depth=3
	s_mov_b64 s[34:35], 0
                                        ; implicit-def: $vgpr4
	s_cbranch_execz .LBB0_24
.LBB0_36:                               ;   in Loop: Header=BB0_16 Depth=3
                                        ; implicit-def: $vgpr4
	s_and_saveexec_b64 s[36:37], s[6:7]
	s_cbranch_execz .LBB0_40
; %bb.37:                               ;   in Loop: Header=BB0_16 Depth=3
	v_add_u32_e32 v4, s44, v1
	v_cmp_gt_i32_e32 vcc, s29, v4
	s_mov_b64 s[38:39], s[34:35]
                                        ; implicit-def: $vgpr4
	s_and_saveexec_b64 s[40:41], vcc
; %bb.38:                               ;   in Loop: Header=BB0_16 Depth=3
	v_add_u32_e32 v4, s44, v16
	s_or_b64 s[38:39], s[34:35], exec
; %bb.39:                               ;   in Loop: Header=BB0_16 Depth=3
	s_or_b64 exec, exec, s[40:41]
	s_andn2_b64 s[34:35], s[34:35], exec
	s_and_b64 s[38:39], s[38:39], exec
	s_or_b64 s[34:35], s[34:35], s[38:39]
.LBB0_40:                               ;   in Loop: Header=BB0_16 Depth=3
	s_or_b64 exec, exec, s[36:37]
	v_mov_b32_e32 v5, 0
	s_and_saveexec_b64 s[36:37], s[34:35]
	s_cbranch_execz .LBB0_15
.LBB0_41:                               ;   in Loop: Header=BB0_16 Depth=3
	v_ashrrev_i32_e32 v5, 31, v4
	v_lshlrev_b64 v[4:5], 2, v[4:5]
	v_mov_b32_e32 v18, s15
	v_add_co_u32_e32 v4, vcc, s14, v4
	v_addc_co_u32_e32 v5, vcc, v18, v5, vcc
	global_load_dword v5, v[4:5], off
	s_branch .LBB0_15
.LBB0_42:                               ;   in Loop: Header=BB0_10 Depth=1
	v_cmp_gt_i32_e32 vcc, s28, v3
	s_and_b64 s[20:21], s[18:19], vcc
	s_and_saveexec_b64 s[6:7], s[20:21]
	s_cbranch_execz .LBB0_9
; %bb.43:                               ;   in Loop: Header=BB0_10 Depth=1
	v_add_u32_e32 v3, s27, v3
	s_and_b64 vcc, exec, s[30:31]
	v_ashrrev_i32_e32 v4, 31, v3
	v_mul_f32_e32 v5, s26, v15
	s_cbranch_vccz .LBB0_45
; %bb.44:                               ;   in Loop: Header=BB0_10 Depth=1
	v_lshlrev_b64 v[15:16], 2, v[3:4]
	v_add_co_u32_e32 v15, vcc, v12, v15
	v_addc_co_u32_e32 v16, vcc, v13, v16, vcc
	global_load_dword v17, v[15:16], off
	s_waitcnt vmcnt(0)
	v_fma_f32 v17, s10, v17, v5
	global_store_dword v[15:16], v17, off
	s_cbranch_execnz .LBB0_9
	s_branch .LBB0_46
.LBB0_45:                               ;   in Loop: Header=BB0_10 Depth=1
.LBB0_46:                               ;   in Loop: Header=BB0_10 Depth=1
	v_lshlrev_b64 v[3:4], 2, v[3:4]
	v_add_co_u32_e32 v3, vcc, v12, v3
	v_addc_co_u32_e32 v4, vcc, v13, v4, vcc
	global_store_dword v[3:4], v5, off
	s_branch .LBB0_9
.LBB0_47:
	s_endpgm
	.section	.rodata,"a",@progbits
	.p2align	6, 0x0
	.amdhsa_kernel _ZN9rocsparseL31gebsrmm_general_blockdim_kernelILi32ELi32EfEEv20rocsparse_direction_20rocsparse_operation_iiNS_24const_host_device_scalarIT1_EEPKiS7_PKS4_iiS9_lS5_PS4_l21rocsparse_index_base_b
		.amdhsa_group_segment_fixed_size 8192
		.amdhsa_private_segment_fixed_size 0
		.amdhsa_kernarg_size 104
		.amdhsa_user_sgpr_count 6
		.amdhsa_user_sgpr_private_segment_buffer 1
		.amdhsa_user_sgpr_dispatch_ptr 0
		.amdhsa_user_sgpr_queue_ptr 0
		.amdhsa_user_sgpr_kernarg_segment_ptr 1
		.amdhsa_user_sgpr_dispatch_id 0
		.amdhsa_user_sgpr_flat_scratch_init 0
		.amdhsa_user_sgpr_private_segment_size 0
		.amdhsa_uses_dynamic_stack 0
		.amdhsa_system_sgpr_private_segment_wavefront_offset 0
		.amdhsa_system_sgpr_workgroup_id_x 1
		.amdhsa_system_sgpr_workgroup_id_y 1
		.amdhsa_system_sgpr_workgroup_id_z 0
		.amdhsa_system_sgpr_workgroup_info 0
		.amdhsa_system_vgpr_workitem_id 1
		.amdhsa_next_free_vgpr 38
		.amdhsa_next_free_sgpr 61
		.amdhsa_reserve_vcc 1
		.amdhsa_reserve_flat_scratch 0
		.amdhsa_float_round_mode_32 0
		.amdhsa_float_round_mode_16_64 0
		.amdhsa_float_denorm_mode_32 3
		.amdhsa_float_denorm_mode_16_64 3
		.amdhsa_dx10_clamp 1
		.amdhsa_ieee_mode 1
		.amdhsa_fp16_overflow 0
		.amdhsa_exception_fp_ieee_invalid_op 0
		.amdhsa_exception_fp_denorm_src 0
		.amdhsa_exception_fp_ieee_div_zero 0
		.amdhsa_exception_fp_ieee_overflow 0
		.amdhsa_exception_fp_ieee_underflow 0
		.amdhsa_exception_fp_ieee_inexact 0
		.amdhsa_exception_int_div_zero 0
	.end_amdhsa_kernel
	.section	.text._ZN9rocsparseL31gebsrmm_general_blockdim_kernelILi32ELi32EfEEv20rocsparse_direction_20rocsparse_operation_iiNS_24const_host_device_scalarIT1_EEPKiS7_PKS4_iiS9_lS5_PS4_l21rocsparse_index_base_b,"axG",@progbits,_ZN9rocsparseL31gebsrmm_general_blockdim_kernelILi32ELi32EfEEv20rocsparse_direction_20rocsparse_operation_iiNS_24const_host_device_scalarIT1_EEPKiS7_PKS4_iiS9_lS5_PS4_l21rocsparse_index_base_b,comdat
.Lfunc_end0:
	.size	_ZN9rocsparseL31gebsrmm_general_blockdim_kernelILi32ELi32EfEEv20rocsparse_direction_20rocsparse_operation_iiNS_24const_host_device_scalarIT1_EEPKiS7_PKS4_iiS9_lS5_PS4_l21rocsparse_index_base_b, .Lfunc_end0-_ZN9rocsparseL31gebsrmm_general_blockdim_kernelILi32ELi32EfEEv20rocsparse_direction_20rocsparse_operation_iiNS_24const_host_device_scalarIT1_EEPKiS7_PKS4_iiS9_lS5_PS4_l21rocsparse_index_base_b
                                        ; -- End function
	.set _ZN9rocsparseL31gebsrmm_general_blockdim_kernelILi32ELi32EfEEv20rocsparse_direction_20rocsparse_operation_iiNS_24const_host_device_scalarIT1_EEPKiS7_PKS4_iiS9_lS5_PS4_l21rocsparse_index_base_b.num_vgpr, 38
	.set _ZN9rocsparseL31gebsrmm_general_blockdim_kernelILi32ELi32EfEEv20rocsparse_direction_20rocsparse_operation_iiNS_24const_host_device_scalarIT1_EEPKiS7_PKS4_iiS9_lS5_PS4_l21rocsparse_index_base_b.num_agpr, 0
	.set _ZN9rocsparseL31gebsrmm_general_blockdim_kernelILi32ELi32EfEEv20rocsparse_direction_20rocsparse_operation_iiNS_24const_host_device_scalarIT1_EEPKiS7_PKS4_iiS9_lS5_PS4_l21rocsparse_index_base_b.numbered_sgpr, 48
	.set _ZN9rocsparseL31gebsrmm_general_blockdim_kernelILi32ELi32EfEEv20rocsparse_direction_20rocsparse_operation_iiNS_24const_host_device_scalarIT1_EEPKiS7_PKS4_iiS9_lS5_PS4_l21rocsparse_index_base_b.num_named_barrier, 0
	.set _ZN9rocsparseL31gebsrmm_general_blockdim_kernelILi32ELi32EfEEv20rocsparse_direction_20rocsparse_operation_iiNS_24const_host_device_scalarIT1_EEPKiS7_PKS4_iiS9_lS5_PS4_l21rocsparse_index_base_b.private_seg_size, 0
	.set _ZN9rocsparseL31gebsrmm_general_blockdim_kernelILi32ELi32EfEEv20rocsparse_direction_20rocsparse_operation_iiNS_24const_host_device_scalarIT1_EEPKiS7_PKS4_iiS9_lS5_PS4_l21rocsparse_index_base_b.uses_vcc, 1
	.set _ZN9rocsparseL31gebsrmm_general_blockdim_kernelILi32ELi32EfEEv20rocsparse_direction_20rocsparse_operation_iiNS_24const_host_device_scalarIT1_EEPKiS7_PKS4_iiS9_lS5_PS4_l21rocsparse_index_base_b.uses_flat_scratch, 0
	.set _ZN9rocsparseL31gebsrmm_general_blockdim_kernelILi32ELi32EfEEv20rocsparse_direction_20rocsparse_operation_iiNS_24const_host_device_scalarIT1_EEPKiS7_PKS4_iiS9_lS5_PS4_l21rocsparse_index_base_b.has_dyn_sized_stack, 0
	.set _ZN9rocsparseL31gebsrmm_general_blockdim_kernelILi32ELi32EfEEv20rocsparse_direction_20rocsparse_operation_iiNS_24const_host_device_scalarIT1_EEPKiS7_PKS4_iiS9_lS5_PS4_l21rocsparse_index_base_b.has_recursion, 0
	.set _ZN9rocsparseL31gebsrmm_general_blockdim_kernelILi32ELi32EfEEv20rocsparse_direction_20rocsparse_operation_iiNS_24const_host_device_scalarIT1_EEPKiS7_PKS4_iiS9_lS5_PS4_l21rocsparse_index_base_b.has_indirect_call, 0
	.section	.AMDGPU.csdata,"",@progbits
; Kernel info:
; codeLenInByte = 1664
; TotalNumSgprs: 52
; NumVgprs: 38
; ScratchSize: 0
; MemoryBound: 0
; FloatMode: 240
; IeeeMode: 1
; LDSByteSize: 8192 bytes/workgroup (compile time only)
; SGPRBlocks: 8
; VGPRBlocks: 9
; NumSGPRsForWavesPerEU: 65
; NumVGPRsForWavesPerEU: 38
; Occupancy: 6
; WaveLimiterHint : 1
; COMPUTE_PGM_RSRC2:SCRATCH_EN: 0
; COMPUTE_PGM_RSRC2:USER_SGPR: 6
; COMPUTE_PGM_RSRC2:TRAP_HANDLER: 0
; COMPUTE_PGM_RSRC2:TGID_X_EN: 1
; COMPUTE_PGM_RSRC2:TGID_Y_EN: 1
; COMPUTE_PGM_RSRC2:TGID_Z_EN: 0
; COMPUTE_PGM_RSRC2:TIDIG_COMP_CNT: 1
	.section	.text._ZN9rocsparseL31gebsrmm_general_blockdim_kernelILi32ELi32EdEEv20rocsparse_direction_20rocsparse_operation_iiNS_24const_host_device_scalarIT1_EEPKiS7_PKS4_iiS9_lS5_PS4_l21rocsparse_index_base_b,"axG",@progbits,_ZN9rocsparseL31gebsrmm_general_blockdim_kernelILi32ELi32EdEEv20rocsparse_direction_20rocsparse_operation_iiNS_24const_host_device_scalarIT1_EEPKiS7_PKS4_iiS9_lS5_PS4_l21rocsparse_index_base_b,comdat
	.globl	_ZN9rocsparseL31gebsrmm_general_blockdim_kernelILi32ELi32EdEEv20rocsparse_direction_20rocsparse_operation_iiNS_24const_host_device_scalarIT1_EEPKiS7_PKS4_iiS9_lS5_PS4_l21rocsparse_index_base_b ; -- Begin function _ZN9rocsparseL31gebsrmm_general_blockdim_kernelILi32ELi32EdEEv20rocsparse_direction_20rocsparse_operation_iiNS_24const_host_device_scalarIT1_EEPKiS7_PKS4_iiS9_lS5_PS4_l21rocsparse_index_base_b
	.p2align	8
	.type	_ZN9rocsparseL31gebsrmm_general_blockdim_kernelILi32ELi32EdEEv20rocsparse_direction_20rocsparse_operation_iiNS_24const_host_device_scalarIT1_EEPKiS7_PKS4_iiS9_lS5_PS4_l21rocsparse_index_base_b,@function
_ZN9rocsparseL31gebsrmm_general_blockdim_kernelILi32ELi32EdEEv20rocsparse_direction_20rocsparse_operation_iiNS_24const_host_device_scalarIT1_EEPKiS7_PKS4_iiS9_lS5_PS4_l21rocsparse_index_base_b: ; @_ZN9rocsparseL31gebsrmm_general_blockdim_kernelILi32ELi32EdEEv20rocsparse_direction_20rocsparse_operation_iiNS_24const_host_device_scalarIT1_EEPKiS7_PKS4_iiS9_lS5_PS4_l21rocsparse_index_base_b
; %bb.0:
	s_load_dwordx2 s[24:25], s[4:5], 0x60
	s_load_dwordx2 s[2:3], s[4:5], 0x10
	s_load_dwordx4 s[12:15], s[4:5], 0x40
	s_waitcnt lgkmcnt(0)
	s_bitcmp1_b32 s25, 0
	s_cselect_b64 s[8:9], -1, 0
	v_mov_b32_e32 v2, s2
	s_xor_b64 s[0:1], s[8:9], -1
	s_and_b64 vcc, exec, s[8:9]
	v_mov_b32_e32 v3, s3
	s_cbranch_vccnz .LBB1_2
; %bb.1:
	v_mov_b32_e32 v2, s2
	v_mov_b32_e32 v3, s3
	flat_load_dwordx2 v[2:3], v[2:3]
.LBB1_2:
	v_mov_b32_e32 v4, s14
	s_andn2_b64 vcc, exec, s[0:1]
	v_mov_b32_e32 v5, s15
	s_cbranch_vccnz .LBB1_4
; %bb.3:
	v_mov_b32_e32 v4, s14
	v_mov_b32_e32 v5, s15
	flat_load_dwordx2 v[4:5], v[4:5]
.LBB1_4:
	s_waitcnt vmcnt(0) lgkmcnt(0)
	v_cmp_neq_f64_e32 vcc, 0, v[2:3]
	v_cmp_neq_f64_e64 s[0:1], 1.0, v[4:5]
	s_or_b64 s[0:1], vcc, s[0:1]
	s_and_saveexec_b64 s[2:3], s[0:1]
	s_cbranch_execz .LBB1_47
; %bb.5:
	s_load_dwordx4 s[8:11], s[4:5], 0x0
	s_mov_b32 s25, 0
	s_mov_b32 s33, 0
	s_waitcnt lgkmcnt(0)
	s_cmp_lt_i32 s6, s10
	s_cselect_b64 s[2:3], -1, 0
	s_cmp_ge_i32 s6, s10
	s_cbranch_scc1 .LBB1_7
; %bb.6:
	s_load_dwordx2 s[14:15], s[4:5], 0x18
	s_mov_b32 s0, s7
	s_ashr_i32 s7, s6, 31
	s_lshl_b64 s[16:17], s[6:7], 2
	s_mov_b32 s7, s0
	s_waitcnt lgkmcnt(0)
	s_add_u32 s0, s14, s16
	s_addc_u32 s1, s15, s17
	s_load_dwordx2 s[14:15], s[0:1], 0x0
	s_waitcnt lgkmcnt(0)
	s_sub_i32 s33, s14, s24
	s_sub_i32 s25, s15, s24
.LBB1_7:
	s_load_dwordx2 s[14:15], s[4:5], 0x30
	s_waitcnt lgkmcnt(0)
	s_cmp_lt_i32 s14, 1
	s_cbranch_scc1 .LBB1_47
; %bb.8:
	s_load_dwordx4 s[20:23], s[4:5], 0x50
	v_lshl_add_u32 v6, s7, 5, v1
	v_ashrrev_i32_e32 v7, 31, v6
	v_mul_lo_u32 v14, s12, v7
	v_mul_lo_u32 v15, s13, v6
	s_waitcnt lgkmcnt(0)
	v_mul_lo_u32 v12, s22, v7
	v_mul_lo_u32 v13, s23, v6
	v_mad_u64_u32 v[8:9], s[0:1], s22, v6, 0
	v_mad_u64_u32 v[10:11], s[0:1], s12, v6, 0
	s_load_dwordx4 s[16:19], s[4:5], 0x20
	s_load_dwordx2 s[26:27], s[4:5], 0x38
	v_add3_u32 v9, v9, v12, v13
	v_add3_u32 v11, v11, v14, v15
	v_lshlrev_b64 v[13:14], 3, v[6:7]
	s_cmp_lt_i32 s33, s25
	s_cselect_b64 s[4:5], -1, 0
	s_waitcnt lgkmcnt(0)
	v_mov_b32_e32 v7, s27
	v_add_co_u32_e32 v13, vcc, s26, v13
	s_cmp_gt_i32 s15, 0
	s_mul_i32 s38, s14, s6
	v_addc_co_u32_e32 v14, vcc, v7, v14, vcc
	s_cselect_b64 s[6:7], -1, 0
	s_cmpk_lg_i32 s9, 0x6f
	v_cmp_gt_i32_e64 s[0:1], s11, v6
	v_lshlrev_b64 v[6:7], 3, v[10:11]
	s_cselect_b64 s[22:23], -1, 0
	s_cmp_lg_u32 s8, 0
	v_mov_b32_e32 v10, s27
	v_add_co_u32_e32 v17, vcc, s26, v6
	s_cselect_b64 s[10:11], -1, 0
	s_and_b64 s[26:27], s[2:3], s[0:1]
	v_cmp_neq_f64_e64 s[2:3], 0, v[4:5]
	v_addc_co_u32_e32 v18, vcc, v10, v7, vcc
	v_lshlrev_b64 v[6:7], 3, v[8:9]
	s_mul_i32 s8, s33, s14
	v_mov_b32_e32 v8, s21
	v_add_co_u32_e32 v19, vcc, s20, v6
	v_add_u32_e32 v6, s8, v0
	v_addc_co_u32_e32 v20, vcc, v8, v7, vcc
	v_mad_u64_u32 v[6:7], s[8:9], s15, v6, v[1:2]
	v_lshlrev_b32_e32 v15, 3, v0
	v_cndmask_b32_e64 v7, 0, 1, s[4:5]
	v_or_b32_e32 v12, 0x2000, v15
	v_lshlrev_b32_e32 v16, 8, v1
	v_cmp_ne_u32_e64 s[4:5], 1, v7
	v_cndmask_b32_e64 v7, 0, 1, s[6:7]
	s_mov_b32 s39, 0
	s_lshl_b32 s40, s15, 5
	s_mul_i32 s41, s15, s14
	v_cmp_ne_u32_e64 s[6:7], 1, v7
	v_add_u32_e32 v21, v12, v16
	s_branch .LBB1_10
.LBB1_9:                                ;   in Loop: Header=BB1_10 Depth=1
	s_or_b64 exec, exec, s[8:9]
	s_add_i32 s39, s39, 32
	s_cmp_lt_i32 s39, s14
	v_add_u32_e32 v6, s40, v6
	s_cbranch_scc0 .LBB1_47
.LBB1_10:                               ; =>This Loop Header: Depth=1
                                        ;     Child Loop BB1_13 Depth 2
                                        ;       Child Loop BB1_16 Depth 3
	v_add_u32_e32 v7, s39, v0
	v_mov_b32_e32 v8, 0
	v_mov_b32_e32 v9, 0
	s_and_b64 vcc, exec, s[4:5]
	v_cmp_gt_i32_e64 s[8:9], s14, v7
	s_cbranch_vccnz .LBB1_42
; %bb.11:                               ;   in Loop: Header=BB1_10 Depth=1
	v_mov_b32_e32 v8, 0
	v_mov_b32_e32 v9, 0
	;; [unrolled: 1-line block ×3, first 2 shown]
	s_mov_b32 s20, s33
	s_branch .LBB1_13
.LBB1_12:                               ;   in Loop: Header=BB1_13 Depth=2
	s_add_i32 s20, s20, 1
	s_cmp_ge_i32 s20, s25
	v_add_u32_e32 v22, s41, v22
	s_cbranch_scc1 .LBB1_42
.LBB1_13:                               ;   Parent Loop BB1_10 Depth=1
                                        ; =>  This Loop Header: Depth=2
                                        ;       Child Loop BB1_16 Depth 3
	s_and_b64 vcc, exec, s[6:7]
	s_cbranch_vccnz .LBB1_12
; %bb.14:                               ;   in Loop: Header=BB1_13 Depth=2
	s_ashr_i32 s21, s20, 31
	s_lshl_b64 s[28:29], s[20:21], 2
	s_add_u32 s28, s16, s28
	s_addc_u32 s29, s17, s29
	s_load_dword s28, s[28:29], 0x0
	s_mul_i32 s21, s20, s15
	s_mov_b32 s42, 0
	s_waitcnt lgkmcnt(0)
	s_sub_i32 s28, s28, s24
	s_mul_i32 s28, s28, s15
	v_add_u32_e32 v23, s28, v0
	s_branch .LBB1_16
.LBB1_15:                               ;   in Loop: Header=BB1_16 Depth=3
	s_or_b64 exec, exec, s[30:31]
	v_add_u32_e32 v10, v15, v16
	s_waitcnt vmcnt(0)
	ds_write_b64 v10, v[11:12]
	s_waitcnt lgkmcnt(0)
	s_barrier
	ds_read2_b64 v[24:27], v15 offset1:32
	ds_read_b128 v[28:31], v16 offset:8192
	ds_read_b128 v[32:35], v16 offset:8208
	v_add_u32_e32 v12, 0x800, v15
	s_add_i32 s42, s42, 32
	s_cmp_ge_i32 s42, s15
	s_waitcnt lgkmcnt(1)
	v_fma_f64 v[8:9], v[24:25], v[28:29], v[8:9]
	v_fma_f64 v[24:25], v[26:27], v[30:31], v[8:9]
	ds_read2_b64 v[8:11], v15 offset0:64 offset1:96
	s_waitcnt lgkmcnt(0)
	v_fma_f64 v[8:9], v[8:9], v[32:33], v[24:25]
	v_fma_f64 v[32:33], v[10:11], v[34:35], v[8:9]
	ds_read2_b64 v[8:11], v15 offset0:128 offset1:160
	ds_read_b128 v[24:27], v16 offset:8224
	ds_read_b128 v[28:31], v16 offset:8240
	s_waitcnt lgkmcnt(1)
	v_fma_f64 v[8:9], v[8:9], v[24:25], v[32:33]
	v_fma_f64 v[24:25], v[10:11], v[26:27], v[8:9]
	ds_read2_b64 v[8:11], v15 offset0:192 offset1:224
	s_waitcnt lgkmcnt(0)
	v_fma_f64 v[8:9], v[8:9], v[28:29], v[24:25]
	v_fma_f64 v[32:33], v[10:11], v[30:31], v[8:9]
	ds_read2_b64 v[8:11], v12 offset1:32
	ds_read_b128 v[24:27], v16 offset:8256
	ds_read_b128 v[28:31], v16 offset:8272
	s_waitcnt lgkmcnt(1)
	v_fma_f64 v[8:9], v[8:9], v[24:25], v[32:33]
	v_fma_f64 v[24:25], v[10:11], v[26:27], v[8:9]
	ds_read2_b64 v[8:11], v12 offset0:64 offset1:96
	s_waitcnt lgkmcnt(0)
	v_fma_f64 v[8:9], v[8:9], v[28:29], v[24:25]
	v_fma_f64 v[32:33], v[10:11], v[30:31], v[8:9]
	ds_read2_b64 v[8:11], v12 offset0:128 offset1:160
	ds_read_b128 v[24:27], v16 offset:8288
	ds_read_b128 v[28:31], v16 offset:8304
	s_waitcnt lgkmcnt(1)
	v_fma_f64 v[8:9], v[8:9], v[24:25], v[32:33]
	v_fma_f64 v[24:25], v[10:11], v[26:27], v[8:9]
	ds_read2_b64 v[8:11], v12 offset0:192 offset1:224
	v_add_u32_e32 v12, 0x1000, v15
	s_waitcnt lgkmcnt(0)
	v_fma_f64 v[8:9], v[8:9], v[28:29], v[24:25]
	v_fma_f64 v[32:33], v[10:11], v[30:31], v[8:9]
	ds_read2_b64 v[8:11], v12 offset1:32
	ds_read_b128 v[24:27], v16 offset:8320
	ds_read_b128 v[28:31], v16 offset:8336
	s_waitcnt lgkmcnt(1)
	v_fma_f64 v[8:9], v[8:9], v[24:25], v[32:33]
	v_fma_f64 v[24:25], v[10:11], v[26:27], v[8:9]
	ds_read2_b64 v[8:11], v12 offset0:64 offset1:96
	s_waitcnt lgkmcnt(0)
	v_fma_f64 v[8:9], v[8:9], v[28:29], v[24:25]
	v_fma_f64 v[32:33], v[10:11], v[30:31], v[8:9]
	ds_read2_b64 v[8:11], v12 offset0:128 offset1:160
	ds_read_b128 v[24:27], v16 offset:8352
	ds_read_b128 v[28:31], v16 offset:8368
	s_waitcnt lgkmcnt(1)
	v_fma_f64 v[8:9], v[8:9], v[24:25], v[32:33]
	v_fma_f64 v[24:25], v[10:11], v[26:27], v[8:9]
	ds_read2_b64 v[8:11], v12 offset0:192 offset1:224
	v_add_u32_e32 v12, 0x1800, v15
	s_waitcnt lgkmcnt(0)
	v_fma_f64 v[8:9], v[8:9], v[28:29], v[24:25]
	v_fma_f64 v[32:33], v[10:11], v[30:31], v[8:9]
	ds_read2_b64 v[8:11], v12 offset1:32
	ds_read_b128 v[24:27], v16 offset:8384
	ds_read_b128 v[28:31], v16 offset:8400
	s_waitcnt lgkmcnt(1)
	v_fma_f64 v[8:9], v[8:9], v[24:25], v[32:33]
	v_fma_f64 v[24:25], v[10:11], v[26:27], v[8:9]
	ds_read2_b64 v[8:11], v12 offset0:64 offset1:96
	s_waitcnt lgkmcnt(0)
	v_fma_f64 v[8:9], v[8:9], v[28:29], v[24:25]
	v_fma_f64 v[32:33], v[10:11], v[30:31], v[8:9]
	ds_read2_b64 v[8:11], v12 offset0:128 offset1:160
	ds_read_b128 v[24:27], v16 offset:8416
	ds_read_b128 v[28:31], v16 offset:8432
	s_waitcnt lgkmcnt(1)
	v_fma_f64 v[8:9], v[8:9], v[24:25], v[32:33]
	v_fma_f64 v[24:25], v[10:11], v[26:27], v[8:9]
	ds_read2_b64 v[8:11], v12 offset0:192 offset1:224
	s_waitcnt lgkmcnt(0)
	s_barrier
	v_fma_f64 v[8:9], v[8:9], v[28:29], v[24:25]
	v_fma_f64 v[8:9], v[10:11], v[30:31], v[8:9]
	s_cbranch_scc1 .LBB1_12
.LBB1_16:                               ;   Parent Loop BB1_10 Depth=1
                                        ;     Parent Loop BB1_13 Depth=2
                                        ; =>    This Inner Loop Header: Depth=3
	s_mov_b64 s[28:29], -1
	s_and_b64 vcc, exec, s[22:23]
                                        ; implicit-def: $vgpr10_vgpr11
	s_cbranch_vccnz .LBB1_25
; %bb.17:                               ;   in Loop: Header=BB1_16 Depth=3
	s_andn2_b64 vcc, exec, s[28:29]
	s_cbranch_vccz .LBB1_30
.LBB1_18:                               ;   in Loop: Header=BB1_16 Depth=3
	s_and_b64 vcc, exec, s[10:11]
	s_waitcnt vmcnt(0)
	ds_write_b64 v21, v[10:11]
	s_cbranch_vccz .LBB1_35
.LBB1_19:                               ;   in Loop: Header=BB1_16 Depth=3
	s_mov_b64 s[30:31], 0
	s_mov_b64 s[28:29], 0
                                        ; implicit-def: $vgpr10
	s_and_saveexec_b64 s[34:35], s[8:9]
	s_cbranch_execz .LBB1_23
; %bb.20:                               ;   in Loop: Header=BB1_16 Depth=3
	v_add_u32_e32 v11, s42, v1
	v_cmp_gt_i32_e32 vcc, s15, v11
                                        ; implicit-def: $vgpr10
	s_and_saveexec_b64 s[36:37], vcc
	s_xor_b64 s[36:37], exec, s[36:37]
; %bb.21:                               ;   in Loop: Header=BB1_16 Depth=3
	v_add_u32_e32 v10, s21, v11
	s_mov_b64 s[28:29], exec
	v_mad_u64_u32 v[10:11], s[44:45], v10, s14, v[7:8]
; %bb.22:                               ;   in Loop: Header=BB1_16 Depth=3
	s_or_b64 exec, exec, s[36:37]
	s_and_b64 s[28:29], s[28:29], exec
.LBB1_23:                               ;   in Loop: Header=BB1_16 Depth=3
	s_or_b64 exec, exec, s[34:35]
	s_and_b64 vcc, exec, s[30:31]
	s_cbranch_vccnz .LBB1_36
.LBB1_24:                               ;   in Loop: Header=BB1_16 Depth=3
	v_mov_b32_e32 v11, 0
	v_mov_b32_e32 v12, 0
	s_and_saveexec_b64 s[30:31], s[28:29]
	s_cbranch_execz .LBB1_15
	s_branch .LBB1_41
.LBB1_25:                               ;   in Loop: Header=BB1_16 Depth=3
	v_mov_b32_e32 v10, 0
	v_mov_b32_e32 v11, 0
	s_and_saveexec_b64 s[28:29], s[0:1]
	s_cbranch_execz .LBB1_29
; %bb.26:                               ;   in Loop: Header=BB1_16 Depth=3
	v_add_u32_e32 v12, s42, v0
	v_mov_b32_e32 v10, 0
	v_mov_b32_e32 v11, 0
	v_cmp_gt_i32_e32 vcc, s15, v12
	s_and_saveexec_b64 s[30:31], vcc
	s_cbranch_execz .LBB1_28
; %bb.27:                               ;   in Loop: Header=BB1_16 Depth=3
	v_add_u32_e32 v10, s42, v23
	v_ashrrev_i32_e32 v12, 31, v10
	v_mul_lo_u32 v24, s13, v10
	v_mad_u64_u32 v[10:11], s[34:35], s12, v10, 0
	v_mul_lo_u32 v12, s12, v12
	v_add3_u32 v11, v11, v12, v24
	v_lshlrev_b64 v[10:11], 3, v[10:11]
	v_add_co_u32_e32 v10, vcc, v13, v10
	v_addc_co_u32_e32 v11, vcc, v14, v11, vcc
	global_load_dwordx2 v[10:11], v[10:11], off
.LBB1_28:                               ;   in Loop: Header=BB1_16 Depth=3
	s_or_b64 exec, exec, s[30:31]
.LBB1_29:                               ;   in Loop: Header=BB1_16 Depth=3
	s_or_b64 exec, exec, s[28:29]
	s_cbranch_execnz .LBB1_18
.LBB1_30:                               ;   in Loop: Header=BB1_16 Depth=3
	s_waitcnt vmcnt(0)
	v_mov_b32_e32 v10, 0
	v_mov_b32_e32 v11, 0
	s_and_saveexec_b64 s[28:29], s[0:1]
	s_cbranch_execz .LBB1_34
; %bb.31:                               ;   in Loop: Header=BB1_16 Depth=3
	v_add_u32_e32 v12, s42, v0
	v_mov_b32_e32 v10, 0
	v_mov_b32_e32 v11, 0
	v_cmp_gt_i32_e32 vcc, s15, v12
	s_and_saveexec_b64 s[30:31], vcc
	s_cbranch_execz .LBB1_33
; %bb.32:                               ;   in Loop: Header=BB1_16 Depth=3
	v_add_u32_e32 v10, s42, v23
	v_ashrrev_i32_e32 v11, 31, v10
	v_lshlrev_b64 v[10:11], 3, v[10:11]
	v_add_co_u32_e32 v10, vcc, v17, v10
	v_addc_co_u32_e32 v11, vcc, v18, v11, vcc
	global_load_dwordx2 v[10:11], v[10:11], off
.LBB1_33:                               ;   in Loop: Header=BB1_16 Depth=3
	s_or_b64 exec, exec, s[30:31]
.LBB1_34:                               ;   in Loop: Header=BB1_16 Depth=3
	s_or_b64 exec, exec, s[28:29]
	s_and_b64 vcc, exec, s[10:11]
	s_waitcnt vmcnt(0)
	ds_write_b64 v21, v[10:11]
	s_cbranch_vccnz .LBB1_19
.LBB1_35:                               ;   in Loop: Header=BB1_16 Depth=3
	s_mov_b64 s[28:29], 0
                                        ; implicit-def: $vgpr10
	s_cbranch_execz .LBB1_24
.LBB1_36:                               ;   in Loop: Header=BB1_16 Depth=3
                                        ; implicit-def: $vgpr10
	s_and_saveexec_b64 s[30:31], s[8:9]
	s_cbranch_execz .LBB1_40
; %bb.37:                               ;   in Loop: Header=BB1_16 Depth=3
	v_add_u32_e32 v10, s42, v1
	v_cmp_gt_i32_e32 vcc, s15, v10
	s_mov_b64 s[34:35], s[28:29]
                                        ; implicit-def: $vgpr10
	s_and_saveexec_b64 s[36:37], vcc
; %bb.38:                               ;   in Loop: Header=BB1_16 Depth=3
	v_add_u32_e32 v10, s42, v22
	s_or_b64 s[34:35], s[28:29], exec
; %bb.39:                               ;   in Loop: Header=BB1_16 Depth=3
	s_or_b64 exec, exec, s[36:37]
	s_andn2_b64 s[28:29], s[28:29], exec
	s_and_b64 s[34:35], s[34:35], exec
	s_or_b64 s[28:29], s[28:29], s[34:35]
.LBB1_40:                               ;   in Loop: Header=BB1_16 Depth=3
	s_or_b64 exec, exec, s[30:31]
	v_mov_b32_e32 v11, 0
	v_mov_b32_e32 v12, 0
	s_and_saveexec_b64 s[30:31], s[28:29]
	s_cbranch_execz .LBB1_15
.LBB1_41:                               ;   in Loop: Header=BB1_16 Depth=3
	v_ashrrev_i32_e32 v11, 31, v10
	v_lshlrev_b64 v[10:11], 3, v[10:11]
	v_mov_b32_e32 v12, s19
	v_add_co_u32_e32 v10, vcc, s18, v10
	v_addc_co_u32_e32 v11, vcc, v12, v11, vcc
	global_load_dwordx2 v[11:12], v[10:11], off
	s_branch .LBB1_15
.LBB1_42:                               ;   in Loop: Header=BB1_10 Depth=1
	v_cmp_gt_i32_e32 vcc, s14, v7
	s_and_b64 s[20:21], s[26:27], vcc
	s_and_saveexec_b64 s[8:9], s[20:21]
	s_cbranch_execz .LBB1_9
; %bb.43:                               ;   in Loop: Header=BB1_10 Depth=1
	v_add_u32_e32 v10, s38, v7
	s_and_saveexec_b64 s[20:21], s[2:3]
	s_xor_b64 s[20:21], exec, s[20:21]
	s_cbranch_execz .LBB1_45
; %bb.44:                               ;   in Loop: Header=BB1_10 Depth=1
	v_ashrrev_i32_e32 v11, 31, v10
	v_lshlrev_b64 v[10:11], 3, v[10:11]
	v_mul_f64 v[7:8], v[2:3], v[8:9]
	v_add_co_u32_e32 v10, vcc, v19, v10
	v_addc_co_u32_e32 v11, vcc, v20, v11, vcc
	global_load_dwordx2 v[22:23], v[10:11], off
	s_waitcnt vmcnt(0)
	v_fma_f64 v[7:8], v[4:5], v[22:23], v[7:8]
	global_store_dwordx2 v[10:11], v[7:8], off
                                        ; implicit-def: $vgpr8_vgpr9
                                        ; implicit-def: $vgpr10
.LBB1_45:                               ;   in Loop: Header=BB1_10 Depth=1
	s_andn2_saveexec_b64 s[20:21], s[20:21]
	s_cbranch_execz .LBB1_9
; %bb.46:                               ;   in Loop: Header=BB1_10 Depth=1
	v_mul_f64 v[7:8], v[2:3], v[8:9]
	v_ashrrev_i32_e32 v11, 31, v10
	v_lshlrev_b64 v[9:10], 3, v[10:11]
	v_add_co_u32_e32 v9, vcc, v19, v9
	v_addc_co_u32_e32 v10, vcc, v20, v10, vcc
	global_store_dwordx2 v[9:10], v[7:8], off
	s_branch .LBB1_9
.LBB1_47:
	s_endpgm
	.section	.rodata,"a",@progbits
	.p2align	6, 0x0
	.amdhsa_kernel _ZN9rocsparseL31gebsrmm_general_blockdim_kernelILi32ELi32EdEEv20rocsparse_direction_20rocsparse_operation_iiNS_24const_host_device_scalarIT1_EEPKiS7_PKS4_iiS9_lS5_PS4_l21rocsparse_index_base_b
		.amdhsa_group_segment_fixed_size 16384
		.amdhsa_private_segment_fixed_size 0
		.amdhsa_kernarg_size 104
		.amdhsa_user_sgpr_count 6
		.amdhsa_user_sgpr_private_segment_buffer 1
		.amdhsa_user_sgpr_dispatch_ptr 0
		.amdhsa_user_sgpr_queue_ptr 0
		.amdhsa_user_sgpr_kernarg_segment_ptr 1
		.amdhsa_user_sgpr_dispatch_id 0
		.amdhsa_user_sgpr_flat_scratch_init 0
		.amdhsa_user_sgpr_private_segment_size 0
		.amdhsa_uses_dynamic_stack 0
		.amdhsa_system_sgpr_private_segment_wavefront_offset 0
		.amdhsa_system_sgpr_workgroup_id_x 1
		.amdhsa_system_sgpr_workgroup_id_y 1
		.amdhsa_system_sgpr_workgroup_id_z 0
		.amdhsa_system_sgpr_workgroup_info 0
		.amdhsa_system_vgpr_workitem_id 1
		.amdhsa_next_free_vgpr 36
		.amdhsa_next_free_sgpr 61
		.amdhsa_reserve_vcc 1
		.amdhsa_reserve_flat_scratch 0
		.amdhsa_float_round_mode_32 0
		.amdhsa_float_round_mode_16_64 0
		.amdhsa_float_denorm_mode_32 3
		.amdhsa_float_denorm_mode_16_64 3
		.amdhsa_dx10_clamp 1
		.amdhsa_ieee_mode 1
		.amdhsa_fp16_overflow 0
		.amdhsa_exception_fp_ieee_invalid_op 0
		.amdhsa_exception_fp_denorm_src 0
		.amdhsa_exception_fp_ieee_div_zero 0
		.amdhsa_exception_fp_ieee_overflow 0
		.amdhsa_exception_fp_ieee_underflow 0
		.amdhsa_exception_fp_ieee_inexact 0
		.amdhsa_exception_int_div_zero 0
	.end_amdhsa_kernel
	.section	.text._ZN9rocsparseL31gebsrmm_general_blockdim_kernelILi32ELi32EdEEv20rocsparse_direction_20rocsparse_operation_iiNS_24const_host_device_scalarIT1_EEPKiS7_PKS4_iiS9_lS5_PS4_l21rocsparse_index_base_b,"axG",@progbits,_ZN9rocsparseL31gebsrmm_general_blockdim_kernelILi32ELi32EdEEv20rocsparse_direction_20rocsparse_operation_iiNS_24const_host_device_scalarIT1_EEPKiS7_PKS4_iiS9_lS5_PS4_l21rocsparse_index_base_b,comdat
.Lfunc_end1:
	.size	_ZN9rocsparseL31gebsrmm_general_blockdim_kernelILi32ELi32EdEEv20rocsparse_direction_20rocsparse_operation_iiNS_24const_host_device_scalarIT1_EEPKiS7_PKS4_iiS9_lS5_PS4_l21rocsparse_index_base_b, .Lfunc_end1-_ZN9rocsparseL31gebsrmm_general_blockdim_kernelILi32ELi32EdEEv20rocsparse_direction_20rocsparse_operation_iiNS_24const_host_device_scalarIT1_EEPKiS7_PKS4_iiS9_lS5_PS4_l21rocsparse_index_base_b
                                        ; -- End function
	.set _ZN9rocsparseL31gebsrmm_general_blockdim_kernelILi32ELi32EdEEv20rocsparse_direction_20rocsparse_operation_iiNS_24const_host_device_scalarIT1_EEPKiS7_PKS4_iiS9_lS5_PS4_l21rocsparse_index_base_b.num_vgpr, 36
	.set _ZN9rocsparseL31gebsrmm_general_blockdim_kernelILi32ELi32EdEEv20rocsparse_direction_20rocsparse_operation_iiNS_24const_host_device_scalarIT1_EEPKiS7_PKS4_iiS9_lS5_PS4_l21rocsparse_index_base_b.num_agpr, 0
	.set _ZN9rocsparseL31gebsrmm_general_blockdim_kernelILi32ELi32EdEEv20rocsparse_direction_20rocsparse_operation_iiNS_24const_host_device_scalarIT1_EEPKiS7_PKS4_iiS9_lS5_PS4_l21rocsparse_index_base_b.numbered_sgpr, 46
	.set _ZN9rocsparseL31gebsrmm_general_blockdim_kernelILi32ELi32EdEEv20rocsparse_direction_20rocsparse_operation_iiNS_24const_host_device_scalarIT1_EEPKiS7_PKS4_iiS9_lS5_PS4_l21rocsparse_index_base_b.num_named_barrier, 0
	.set _ZN9rocsparseL31gebsrmm_general_blockdim_kernelILi32ELi32EdEEv20rocsparse_direction_20rocsparse_operation_iiNS_24const_host_device_scalarIT1_EEPKiS7_PKS4_iiS9_lS5_PS4_l21rocsparse_index_base_b.private_seg_size, 0
	.set _ZN9rocsparseL31gebsrmm_general_blockdim_kernelILi32ELi32EdEEv20rocsparse_direction_20rocsparse_operation_iiNS_24const_host_device_scalarIT1_EEPKiS7_PKS4_iiS9_lS5_PS4_l21rocsparse_index_base_b.uses_vcc, 1
	.set _ZN9rocsparseL31gebsrmm_general_blockdim_kernelILi32ELi32EdEEv20rocsparse_direction_20rocsparse_operation_iiNS_24const_host_device_scalarIT1_EEPKiS7_PKS4_iiS9_lS5_PS4_l21rocsparse_index_base_b.uses_flat_scratch, 0
	.set _ZN9rocsparseL31gebsrmm_general_blockdim_kernelILi32ELi32EdEEv20rocsparse_direction_20rocsparse_operation_iiNS_24const_host_device_scalarIT1_EEPKiS7_PKS4_iiS9_lS5_PS4_l21rocsparse_index_base_b.has_dyn_sized_stack, 0
	.set _ZN9rocsparseL31gebsrmm_general_blockdim_kernelILi32ELi32EdEEv20rocsparse_direction_20rocsparse_operation_iiNS_24const_host_device_scalarIT1_EEPKiS7_PKS4_iiS9_lS5_PS4_l21rocsparse_index_base_b.has_recursion, 0
	.set _ZN9rocsparseL31gebsrmm_general_blockdim_kernelILi32ELi32EdEEv20rocsparse_direction_20rocsparse_operation_iiNS_24const_host_device_scalarIT1_EEPKiS7_PKS4_iiS9_lS5_PS4_l21rocsparse_index_base_b.has_indirect_call, 0
	.section	.AMDGPU.csdata,"",@progbits
; Kernel info:
; codeLenInByte = 1940
; TotalNumSgprs: 50
; NumVgprs: 36
; ScratchSize: 0
; MemoryBound: 0
; FloatMode: 240
; IeeeMode: 1
; LDSByteSize: 16384 bytes/workgroup (compile time only)
; SGPRBlocks: 8
; VGPRBlocks: 8
; NumSGPRsForWavesPerEU: 65
; NumVGPRsForWavesPerEU: 36
; Occupancy: 7
; WaveLimiterHint : 1
; COMPUTE_PGM_RSRC2:SCRATCH_EN: 0
; COMPUTE_PGM_RSRC2:USER_SGPR: 6
; COMPUTE_PGM_RSRC2:TRAP_HANDLER: 0
; COMPUTE_PGM_RSRC2:TGID_X_EN: 1
; COMPUTE_PGM_RSRC2:TGID_Y_EN: 1
; COMPUTE_PGM_RSRC2:TGID_Z_EN: 0
; COMPUTE_PGM_RSRC2:TIDIG_COMP_CNT: 1
	.section	.text._ZN9rocsparseL31gebsrmm_general_blockdim_kernelILi32ELi32E21rocsparse_complex_numIfEEEv20rocsparse_direction_20rocsparse_operation_iiNS_24const_host_device_scalarIT1_EEPKiS9_PKS6_iiSB_lS7_PS6_l21rocsparse_index_base_b,"axG",@progbits,_ZN9rocsparseL31gebsrmm_general_blockdim_kernelILi32ELi32E21rocsparse_complex_numIfEEEv20rocsparse_direction_20rocsparse_operation_iiNS_24const_host_device_scalarIT1_EEPKiS9_PKS6_iiSB_lS7_PS6_l21rocsparse_index_base_b,comdat
	.globl	_ZN9rocsparseL31gebsrmm_general_blockdim_kernelILi32ELi32E21rocsparse_complex_numIfEEEv20rocsparse_direction_20rocsparse_operation_iiNS_24const_host_device_scalarIT1_EEPKiS9_PKS6_iiSB_lS7_PS6_l21rocsparse_index_base_b ; -- Begin function _ZN9rocsparseL31gebsrmm_general_blockdim_kernelILi32ELi32E21rocsparse_complex_numIfEEEv20rocsparse_direction_20rocsparse_operation_iiNS_24const_host_device_scalarIT1_EEPKiS9_PKS6_iiSB_lS7_PS6_l21rocsparse_index_base_b
	.p2align	8
	.type	_ZN9rocsparseL31gebsrmm_general_blockdim_kernelILi32ELi32E21rocsparse_complex_numIfEEEv20rocsparse_direction_20rocsparse_operation_iiNS_24const_host_device_scalarIT1_EEPKiS9_PKS6_iiSB_lS7_PS6_l21rocsparse_index_base_b,@function
_ZN9rocsparseL31gebsrmm_general_blockdim_kernelILi32ELi32E21rocsparse_complex_numIfEEEv20rocsparse_direction_20rocsparse_operation_iiNS_24const_host_device_scalarIT1_EEPKiS9_PKS6_iiSB_lS7_PS6_l21rocsparse_index_base_b: ; @_ZN9rocsparseL31gebsrmm_general_blockdim_kernelILi32ELi32E21rocsparse_complex_numIfEEEv20rocsparse_direction_20rocsparse_operation_iiNS_24const_host_device_scalarIT1_EEPKiS9_PKS6_iiSB_lS7_PS6_l21rocsparse_index_base_b
; %bb.0:
	s_load_dwordx2 s[0:1], s[4:5], 0x10
	s_load_dwordx4 s[8:11], s[4:5], 0x40
	s_load_dwordx2 s[24:25], s[4:5], 0x60
	s_add_u32 s2, s4, 16
	s_addc_u32 s3, s5, 0
	s_add_u32 s12, s4, 0x48
	s_addc_u32 s13, s5, 0
	s_waitcnt lgkmcnt(0)
	s_bitcmp1_b32 s25, 0
	s_cselect_b32 s1, s3, s1
	s_cselect_b32 s0, s2, s0
	v_mov_b32_e32 v2, s0
	v_mov_b32_e32 v3, s1
	flat_load_dwordx2 v[2:3], v[2:3]
	s_cselect_b32 s0, s13, s11
	s_cselect_b32 s1, s12, s10
	v_mov_b32_e32 v4, s1
	v_mov_b32_e32 v5, s0
	flat_load_dwordx2 v[4:5], v[4:5]
	s_waitcnt vmcnt(0) lgkmcnt(0)
	v_cmp_eq_f32_e32 vcc, 0, v2
	v_cmp_eq_f32_e64 s[0:1], 0, v3
	s_and_b64 s[10:11], vcc, s[0:1]
	s_mov_b64 s[0:1], -1
	s_and_saveexec_b64 s[2:3], s[10:11]
; %bb.1:
	v_cmp_neq_f32_e32 vcc, 1.0, v4
	v_cmp_neq_f32_e64 s[0:1], 0, v5
	s_or_b64 s[0:1], vcc, s[0:1]
	s_orn2_b64 s[0:1], s[0:1], exec
; %bb.2:
	s_or_b64 exec, exec, s[2:3]
	s_and_saveexec_b64 s[2:3], s[0:1]
	s_cbranch_execz .LBB2_47
; %bb.3:
	s_load_dwordx4 s[16:19], s[4:5], 0x0
	s_mov_b32 s25, 0
	s_mov_b32 s33, 0
	s_waitcnt lgkmcnt(0)
	s_cmp_lt_i32 s6, s18
	s_cselect_b64 s[2:3], -1, 0
	s_cmp_ge_i32 s6, s18
	s_cbranch_scc1 .LBB2_5
; %bb.4:
	s_load_dwordx2 s[10:11], s[4:5], 0x18
	s_mov_b32 s0, s7
	s_ashr_i32 s7, s6, 31
	s_lshl_b64 s[12:13], s[6:7], 2
	s_mov_b32 s7, s0
	s_waitcnt lgkmcnt(0)
	s_add_u32 s0, s10, s12
	s_addc_u32 s1, s11, s13
	s_load_dwordx2 s[10:11], s[0:1], 0x0
	s_waitcnt lgkmcnt(0)
	s_sub_i32 s33, s10, s24
	s_sub_i32 s25, s11, s24
.LBB2_5:
	s_load_dwordx2 s[10:11], s[4:5], 0x30
	s_waitcnt lgkmcnt(0)
	s_cmp_lt_i32 s10, 1
	s_cbranch_scc1 .LBB2_47
; %bb.6:
	s_load_dwordx4 s[20:23], s[4:5], 0x50
	v_lshl_add_u32 v6, s7, 5, v1
	v_ashrrev_i32_e32 v7, 31, v6
	s_load_dwordx4 s[12:15], s[4:5], 0x20
	s_load_dwordx2 s[26:27], s[4:5], 0x38
	v_mul_lo_u32 v14, s8, v7
	s_waitcnt lgkmcnt(0)
	v_mul_lo_u32 v12, s22, v7
	v_mul_lo_u32 v13, s23, v6
	v_mad_u64_u32 v[8:9], s[0:1], s22, v6, 0
	v_mul_lo_u32 v15, s9, v6
	v_mad_u64_u32 v[10:11], s[0:1], s8, v6, 0
	v_add3_u32 v9, v9, v12, v13
	v_lshlrev_b64 v[12:13], 3, v[6:7]
	v_add3_u32 v11, v11, v14, v15
	v_mov_b32_e32 v7, s27
	v_add_co_u32_e32 v12, vcc, s26, v12
	s_cmp_lt_i32 s33, s25
	v_addc_co_u32_e32 v13, vcc, v7, v13, vcc
	v_cmp_gt_i32_e64 s[0:1], s19, v6
	v_lshlrev_b64 v[6:7], 3, v[10:11]
	s_cselect_b64 s[4:5], -1, 0
	s_cmp_gt_i32 s11, 0
	s_mul_i32 s38, s10, s6
	s_cselect_b64 s[6:7], -1, 0
	s_cmpk_lg_i32 s17, 0x6f
	v_mov_b32_e32 v10, s27
	v_add_co_u32_e32 v16, vcc, s26, v6
	s_cselect_b64 s[22:23], -1, 0
	v_addc_co_u32_e32 v17, vcc, v10, v7, vcc
	s_cmp_lg_u32 s16, 0
	s_cselect_b64 s[16:17], -1, 0
	s_and_b64 s[18:19], s[2:3], s[0:1]
	v_cmp_neq_f32_e32 vcc, 0, v4
	v_cmp_neq_f32_e64 s[2:3], 0, v5
	v_lshlrev_b64 v[6:7], 3, v[8:9]
	s_or_b64 s[26:27], vcc, s[2:3]
	s_mul_i32 s2, s33, s10
	v_mov_b32_e32 v8, s21
	v_add_co_u32_e32 v18, vcc, s20, v6
	v_add_u32_e32 v6, s2, v0
	v_addc_co_u32_e32 v19, vcc, v8, v7, vcc
	v_mad_u64_u32 v[6:7], s[2:3], s11, v6, v[1:2]
	v_lshlrev_b32_e32 v14, 3, v0
	v_cndmask_b32_e64 v7, 0, 1, s[4:5]
	v_or_b32_e32 v20, 0x2000, v14
	v_lshlrev_b32_e32 v15, 8, v1
	v_cmp_ne_u32_e64 s[2:3], 1, v7
	v_cndmask_b32_e64 v7, 0, 1, s[6:7]
	s_mov_b32 s39, 0
	s_lshl_b32 s40, s11, 5
	s_mul_i32 s41, s11, s10
	v_cmp_ne_u32_e64 s[4:5], 1, v7
	v_add_u32_e32 v20, v20, v15
	s_branch .LBB2_8
.LBB2_7:                                ;   in Loop: Header=BB2_8 Depth=1
	s_or_b64 exec, exec, s[6:7]
	s_add_i32 s39, s39, 32
	s_cmp_lt_i32 s39, s10
	v_add_u32_e32 v6, s40, v6
	s_cbranch_scc0 .LBB2_47
.LBB2_8:                                ; =>This Loop Header: Depth=1
                                        ;     Child Loop BB2_11 Depth 2
                                        ;       Child Loop BB2_14 Depth 3
	v_add_u32_e32 v7, s39, v0
	v_mov_b32_e32 v21, 0
	s_and_b64 vcc, exec, s[2:3]
	v_cmp_gt_i32_e64 s[6:7], s10, v7
	v_mov_b32_e32 v24, 0
	s_cbranch_vccnz .LBB2_42
; %bb.9:                                ;   in Loop: Header=BB2_8 Depth=1
	v_mov_b32_e32 v21, 0
	v_mov_b32_e32 v22, v6
	s_mov_b32 s20, s33
	v_mov_b32_e32 v24, 0
	s_branch .LBB2_11
.LBB2_10:                               ;   in Loop: Header=BB2_11 Depth=2
	s_add_i32 s20, s20, 1
	s_cmp_ge_i32 s20, s25
	v_add_u32_e32 v22, s41, v22
	s_cbranch_scc1 .LBB2_42
.LBB2_11:                               ;   Parent Loop BB2_8 Depth=1
                                        ; =>  This Loop Header: Depth=2
                                        ;       Child Loop BB2_14 Depth 3
	s_and_b64 vcc, exec, s[4:5]
	s_cbranch_vccnz .LBB2_10
; %bb.12:                               ;   in Loop: Header=BB2_11 Depth=2
	s_ashr_i32 s21, s20, 31
	s_lshl_b64 s[28:29], s[20:21], 2
	s_add_u32 s28, s12, s28
	s_addc_u32 s29, s13, s29
	s_load_dword s28, s[28:29], 0x0
	s_mul_i32 s21, s20, s11
	s_mov_b32 s42, 0
	s_waitcnt lgkmcnt(0)
	s_sub_i32 s28, s28, s24
	s_mul_i32 s28, s28, s11
	v_add_u32_e32 v23, s28, v0
	s_branch .LBB2_14
.LBB2_13:                               ;   in Loop: Header=BB2_14 Depth=3
	s_or_b64 exec, exec, s[30:31]
	v_add_u32_e32 v8, v14, v15
	s_waitcnt vmcnt(0)
	ds_write_b64 v8, v[9:10]
	s_waitcnt lgkmcnt(0)
	s_barrier
	ds_read2_b64 v[8:11], v14 offset1:32
	ds_read_b128 v[25:28], v15 offset:8192
	ds_read_b128 v[29:32], v15 offset:8208
	;; [unrolled: 1-line block ×4, first 2 shown]
	ds_read2_b64 v[41:44], v14 offset0:64 offset1:96
	s_waitcnt lgkmcnt(4)
	v_fmac_f32_e32 v24, v8, v25
	v_fma_f32 v24, -v9, v26, v24
	v_fmac_f32_e32 v21, v9, v25
	v_fmac_f32_e32 v24, v10, v27
	v_fmac_f32_e32 v21, v8, v26
	v_fma_f32 v8, -v11, v28, v24
	v_fmac_f32_e32 v21, v11, v27
	s_waitcnt lgkmcnt(0)
	v_fmac_f32_e32 v8, v41, v29
	v_fmac_f32_e32 v21, v10, v28
	v_fma_f32 v24, -v42, v30, v8
	ds_read2_b64 v[8:11], v14 offset0:128 offset1:160
	v_fmac_f32_e32 v24, v43, v31
	v_fmac_f32_e32 v21, v42, v29
	v_fma_f32 v24, -v44, v32, v24
	v_fmac_f32_e32 v21, v41, v30
	s_waitcnt lgkmcnt(0)
	v_fmac_f32_e32 v24, v8, v33
	v_fmac_f32_e32 v21, v44, v31
	v_fma_f32 v28, -v9, v34, v24
	ds_read2_b64 v[24:27], v14 offset0:192 offset1:224
	v_fmac_f32_e32 v21, v43, v32
	v_fmac_f32_e32 v21, v9, v33
	;; [unrolled: 1-line block ×4, first 2 shown]
	v_fma_f32 v8, -v11, v36, v28
	v_fmac_f32_e32 v21, v11, v35
	v_fmac_f32_e32 v21, v10, v36
	s_waitcnt lgkmcnt(0)
	v_fmac_f32_e32 v8, v24, v37
	v_add_u32_e32 v36, 0x800, v14
	v_fma_f32 v32, -v25, v38, v8
	ds_read2_b64 v[8:11], v36 offset1:32
	ds_read_b128 v[28:31], v15 offset:8256
	v_fmac_f32_e32 v21, v25, v37
	v_fmac_f32_e32 v32, v26, v39
	;; [unrolled: 1-line block ×3, first 2 shown]
	v_fma_f32 v32, -v27, v40, v32
	v_fmac_f32_e32 v21, v27, v39
	s_waitcnt lgkmcnt(0)
	v_fmac_f32_e32 v32, v8, v28
	v_fmac_f32_e32 v21, v26, v40
	ds_read_b128 v[24:27], v15 offset:8272
	v_fma_f32 v37, -v9, v29, v32
	ds_read2_b64 v[32:35], v36 offset0:64 offset1:96
	v_fmac_f32_e32 v21, v9, v28
	v_fmac_f32_e32 v37, v10, v30
	;; [unrolled: 1-line block ×3, first 2 shown]
	v_fma_f32 v8, -v11, v31, v37
	v_fmac_f32_e32 v21, v11, v30
	s_waitcnt lgkmcnt(0)
	v_fmac_f32_e32 v8, v32, v24
	v_fmac_f32_e32 v21, v10, v31
	v_fma_f32 v37, -v33, v25, v8
	ds_read2_b64 v[8:11], v36 offset0:128 offset1:160
	ds_read_b128 v[28:31], v15 offset:8288
	v_fmac_f32_e32 v21, v33, v24
	v_fmac_f32_e32 v37, v34, v26
	;; [unrolled: 1-line block ×3, first 2 shown]
	v_fma_f32 v32, -v35, v27, v37
	v_fmac_f32_e32 v21, v35, v26
	s_waitcnt lgkmcnt(0)
	v_fmac_f32_e32 v32, v8, v28
	v_fmac_f32_e32 v21, v34, v27
	ds_read_b128 v[24:27], v15 offset:8304
	v_fma_f32 v37, -v9, v29, v32
	ds_read2_b64 v[32:35], v36 offset0:192 offset1:224
	v_fmac_f32_e32 v21, v9, v28
	v_fmac_f32_e32 v37, v10, v30
	;; [unrolled: 1-line block ×3, first 2 shown]
	v_fma_f32 v8, -v11, v31, v37
	v_fmac_f32_e32 v21, v11, v30
	s_waitcnt lgkmcnt(0)
	v_fmac_f32_e32 v8, v32, v24
	v_add_u32_e32 v37, 0x1000, v14
	v_fmac_f32_e32 v21, v10, v31
	v_fma_f32 v36, -v33, v25, v8
	ds_read2_b64 v[8:11], v37 offset1:32
	ds_read_b128 v[28:31], v15 offset:8320
	v_fmac_f32_e32 v21, v33, v24
	v_fmac_f32_e32 v36, v34, v26
	;; [unrolled: 1-line block ×3, first 2 shown]
	v_fma_f32 v32, -v35, v27, v36
	v_fmac_f32_e32 v21, v35, v26
	s_waitcnt lgkmcnt(0)
	v_fmac_f32_e32 v32, v8, v28
	v_fmac_f32_e32 v21, v34, v27
	ds_read_b128 v[24:27], v15 offset:8336
	v_fma_f32 v36, -v9, v29, v32
	ds_read2_b64 v[32:35], v37 offset0:64 offset1:96
	v_fmac_f32_e32 v21, v9, v28
	v_fmac_f32_e32 v36, v10, v30
	;; [unrolled: 1-line block ×3, first 2 shown]
	v_fma_f32 v8, -v11, v31, v36
	v_fmac_f32_e32 v21, v11, v30
	s_waitcnt lgkmcnt(0)
	v_fmac_f32_e32 v8, v32, v24
	v_fmac_f32_e32 v21, v10, v31
	v_fma_f32 v36, -v33, v25, v8
	ds_read2_b64 v[8:11], v37 offset0:128 offset1:160
	ds_read_b128 v[28:31], v15 offset:8352
	v_fmac_f32_e32 v21, v33, v24
	v_fmac_f32_e32 v36, v34, v26
	v_fmac_f32_e32 v21, v32, v25
	v_fma_f32 v32, -v35, v27, v36
	v_fmac_f32_e32 v21, v35, v26
	s_waitcnt lgkmcnt(0)
	v_fmac_f32_e32 v32, v8, v28
	v_fmac_f32_e32 v21, v34, v27
	ds_read_b128 v[24:27], v15 offset:8368
	v_fma_f32 v36, -v9, v29, v32
	ds_read2_b64 v[32:35], v37 offset0:192 offset1:224
	v_fmac_f32_e32 v21, v9, v28
	v_fmac_f32_e32 v36, v10, v30
	;; [unrolled: 1-line block ×3, first 2 shown]
	v_fma_f32 v8, -v11, v31, v36
	v_fmac_f32_e32 v21, v11, v30
	s_waitcnt lgkmcnt(0)
	v_fmac_f32_e32 v8, v32, v24
	v_add_u32_e32 v37, 0x1800, v14
	v_fmac_f32_e32 v21, v10, v31
	v_fma_f32 v36, -v33, v25, v8
	ds_read2_b64 v[8:11], v37 offset1:32
	ds_read_b128 v[28:31], v15 offset:8384
	v_fmac_f32_e32 v21, v33, v24
	v_fmac_f32_e32 v36, v34, v26
	;; [unrolled: 1-line block ×3, first 2 shown]
	v_fma_f32 v32, -v35, v27, v36
	v_fmac_f32_e32 v21, v35, v26
	s_waitcnt lgkmcnt(0)
	v_fmac_f32_e32 v32, v8, v28
	v_fmac_f32_e32 v21, v34, v27
	ds_read_b128 v[24:27], v15 offset:8400
	v_fma_f32 v36, -v9, v29, v32
	ds_read2_b64 v[32:35], v37 offset0:64 offset1:96
	v_fmac_f32_e32 v21, v9, v28
	v_fmac_f32_e32 v36, v10, v30
	;; [unrolled: 1-line block ×3, first 2 shown]
	v_fma_f32 v8, -v11, v31, v36
	v_fmac_f32_e32 v21, v11, v30
	s_waitcnt lgkmcnt(0)
	v_fmac_f32_e32 v8, v32, v24
	v_fmac_f32_e32 v21, v10, v31
	v_fma_f32 v36, -v33, v25, v8
	ds_read2_b64 v[8:11], v37 offset0:128 offset1:160
	ds_read_b128 v[28:31], v15 offset:8416
	v_fmac_f32_e32 v21, v33, v24
	v_fmac_f32_e32 v36, v34, v26
	;; [unrolled: 1-line block ×3, first 2 shown]
	v_fma_f32 v32, -v35, v27, v36
	v_fmac_f32_e32 v21, v35, v26
	s_waitcnt lgkmcnt(0)
	v_fmac_f32_e32 v32, v8, v28
	v_fmac_f32_e32 v21, v34, v27
	ds_read_b128 v[24:27], v15 offset:8432
	v_fma_f32 v36, -v9, v29, v32
	ds_read2_b64 v[32:35], v37 offset0:192 offset1:224
	v_fmac_f32_e32 v21, v9, v28
	v_fmac_f32_e32 v21, v8, v29
	;; [unrolled: 1-line block ×4, first 2 shown]
	v_fma_f32 v8, -v11, v31, v36
	v_fmac_f32_e32 v21, v10, v31
	s_waitcnt lgkmcnt(0)
	v_fmac_f32_e32 v8, v32, v24
	v_fmac_f32_e32 v21, v33, v24
	v_fma_f32 v8, -v33, v25, v8
	v_fmac_f32_e32 v21, v32, v25
	v_fmac_f32_e32 v8, v34, v26
	;; [unrolled: 1-line block ×3, first 2 shown]
	s_add_i32 s42, s42, 32
	v_fma_f32 v24, -v35, v27, v8
	v_fmac_f32_e32 v21, v34, v27
	s_cmp_ge_i32 s42, s11
	s_barrier
	s_cbranch_scc1 .LBB2_10
.LBB2_14:                               ;   Parent Loop BB2_8 Depth=1
                                        ;     Parent Loop BB2_11 Depth=2
                                        ; =>    This Inner Loop Header: Depth=3
	s_and_b64 vcc, exec, s[22:23]
	s_cbranch_vccz .LBB2_20
; %bb.15:                               ;   in Loop: Header=BB2_14 Depth=3
	s_mov_b64 s[30:31], 0
	s_mov_b64 s[28:29], 0
                                        ; implicit-def: $vgpr8_vgpr9
	s_and_saveexec_b64 s[34:35], s[0:1]
	s_cbranch_execz .LBB2_19
; %bb.16:                               ;   in Loop: Header=BB2_14 Depth=3
	v_add_u32_e32 v8, s42, v0
	v_cmp_gt_i32_e32 vcc, s11, v8
                                        ; implicit-def: $vgpr8_vgpr9
	s_and_saveexec_b64 s[36:37], vcc
	s_xor_b64 s[36:37], exec, s[36:37]
	s_cbranch_execz .LBB2_18
; %bb.17:                               ;   in Loop: Header=BB2_14 Depth=3
	v_add_u32_e32 v8, s42, v23
	v_ashrrev_i32_e32 v9, 31, v8
	v_mul_lo_u32 v10, s8, v9
	v_mul_lo_u32 v11, s9, v8
	v_mad_u64_u32 v[8:9], s[44:45], s8, v8, 0
	s_mov_b64 s[28:29], exec
	v_add3_u32 v9, v9, v10, v11
	v_lshlrev_b64 v[8:9], 3, v[8:9]
	v_add_co_u32_e32 v8, vcc, v12, v8
	v_addc_co_u32_e32 v9, vcc, v13, v9, vcc
.LBB2_18:                               ;   in Loop: Header=BB2_14 Depth=3
	s_or_b64 exec, exec, s[36:37]
	s_and_b64 s[28:29], s[28:29], exec
.LBB2_19:                               ;   in Loop: Header=BB2_14 Depth=3
	s_or_b64 exec, exec, s[34:35]
	s_and_b64 vcc, exec, s[30:31]
	s_cbranch_vccnz .LBB2_21
	s_branch .LBB2_26
.LBB2_20:                               ;   in Loop: Header=BB2_14 Depth=3
	s_mov_b64 s[28:29], 0
                                        ; implicit-def: $vgpr8_vgpr9
	s_cbranch_execz .LBB2_26
.LBB2_21:                               ;   in Loop: Header=BB2_14 Depth=3
                                        ; implicit-def: $vgpr8_vgpr9
	s_and_saveexec_b64 s[30:31], s[0:1]
	s_cbranch_execz .LBB2_25
; %bb.22:                               ;   in Loop: Header=BB2_14 Depth=3
	v_add_u32_e32 v8, s42, v0
	v_cmp_gt_i32_e32 vcc, s11, v8
	s_mov_b64 s[36:37], s[28:29]
                                        ; implicit-def: $vgpr8_vgpr9
	s_and_saveexec_b64 s[34:35], vcc
; %bb.23:                               ;   in Loop: Header=BB2_14 Depth=3
	v_add_u32_e32 v8, s42, v23
	v_ashrrev_i32_e32 v9, 31, v8
	v_lshlrev_b64 v[8:9], 3, v[8:9]
	s_or_b64 s[36:37], s[28:29], exec
	v_add_co_u32_e32 v8, vcc, v16, v8
	v_addc_co_u32_e32 v9, vcc, v17, v9, vcc
; %bb.24:                               ;   in Loop: Header=BB2_14 Depth=3
	s_or_b64 exec, exec, s[34:35]
	s_andn2_b64 s[28:29], s[28:29], exec
	s_and_b64 s[34:35], s[36:37], exec
	s_or_b64 s[28:29], s[28:29], s[34:35]
.LBB2_25:                               ;   in Loop: Header=BB2_14 Depth=3
	s_or_b64 exec, exec, s[30:31]
.LBB2_26:                               ;   in Loop: Header=BB2_14 Depth=3
	v_mov_b32_e32 v10, 0
	v_mov_b32_e32 v11, 0
	s_and_saveexec_b64 s[30:31], s[28:29]
	s_cbranch_execnz .LBB2_34
; %bb.27:                               ;   in Loop: Header=BB2_14 Depth=3
	s_or_b64 exec, exec, s[30:31]
	s_and_b64 vcc, exec, s[16:17]
	ds_write_b64 v20, v[10:11]
	s_cbranch_vccz .LBB2_35
.LBB2_28:                               ;   in Loop: Header=BB2_14 Depth=3
	s_mov_b64 s[30:31], 0
	s_mov_b64 s[28:29], 0
                                        ; implicit-def: $vgpr8
	s_and_saveexec_b64 s[34:35], s[6:7]
	s_cbranch_execz .LBB2_32
; %bb.29:                               ;   in Loop: Header=BB2_14 Depth=3
	v_add_u32_e32 v9, s42, v1
	v_cmp_gt_i32_e32 vcc, s11, v9
                                        ; implicit-def: $vgpr8
	s_and_saveexec_b64 s[36:37], vcc
	s_xor_b64 s[36:37], exec, s[36:37]
; %bb.30:                               ;   in Loop: Header=BB2_14 Depth=3
	v_add_u32_e32 v8, s21, v9
	s_mov_b64 s[28:29], exec
	v_mad_u64_u32 v[8:9], s[44:45], v8, s10, v[7:8]
; %bb.31:                               ;   in Loop: Header=BB2_14 Depth=3
	s_or_b64 exec, exec, s[36:37]
	s_and_b64 s[28:29], s[28:29], exec
.LBB2_32:                               ;   in Loop: Header=BB2_14 Depth=3
	s_or_b64 exec, exec, s[34:35]
	s_and_b64 vcc, exec, s[30:31]
	s_cbranch_vccnz .LBB2_36
.LBB2_33:                               ;   in Loop: Header=BB2_14 Depth=3
	v_mov_b32_e32 v9, 0
	v_mov_b32_e32 v10, 0
	s_and_saveexec_b64 s[30:31], s[28:29]
	s_cbranch_execz .LBB2_13
	s_branch .LBB2_41
.LBB2_34:                               ;   in Loop: Header=BB2_14 Depth=3
	global_load_dwordx2 v[10:11], v[8:9], off
	s_or_b64 exec, exec, s[30:31]
	s_and_b64 vcc, exec, s[16:17]
	s_waitcnt vmcnt(0)
	ds_write_b64 v20, v[10:11]
	s_cbranch_vccnz .LBB2_28
.LBB2_35:                               ;   in Loop: Header=BB2_14 Depth=3
	s_mov_b64 s[28:29], 0
                                        ; implicit-def: $vgpr8
	s_cbranch_execz .LBB2_33
.LBB2_36:                               ;   in Loop: Header=BB2_14 Depth=3
                                        ; implicit-def: $vgpr8
	s_and_saveexec_b64 s[30:31], s[6:7]
	s_cbranch_execz .LBB2_40
; %bb.37:                               ;   in Loop: Header=BB2_14 Depth=3
	v_add_u32_e32 v8, s42, v1
	v_cmp_gt_i32_e32 vcc, s11, v8
	s_mov_b64 s[34:35], s[28:29]
                                        ; implicit-def: $vgpr8
	s_and_saveexec_b64 s[36:37], vcc
; %bb.38:                               ;   in Loop: Header=BB2_14 Depth=3
	v_add_u32_e32 v8, s42, v22
	s_or_b64 s[34:35], s[28:29], exec
; %bb.39:                               ;   in Loop: Header=BB2_14 Depth=3
	s_or_b64 exec, exec, s[36:37]
	s_andn2_b64 s[28:29], s[28:29], exec
	s_and_b64 s[34:35], s[34:35], exec
	s_or_b64 s[28:29], s[28:29], s[34:35]
.LBB2_40:                               ;   in Loop: Header=BB2_14 Depth=3
	s_or_b64 exec, exec, s[30:31]
	v_mov_b32_e32 v9, 0
	v_mov_b32_e32 v10, 0
	s_and_saveexec_b64 s[30:31], s[28:29]
	s_cbranch_execz .LBB2_13
.LBB2_41:                               ;   in Loop: Header=BB2_14 Depth=3
	v_ashrrev_i32_e32 v9, 31, v8
	v_lshlrev_b64 v[8:9], 3, v[8:9]
	v_mov_b32_e32 v10, s15
	v_add_co_u32_e32 v8, vcc, s14, v8
	v_addc_co_u32_e32 v9, vcc, v10, v9, vcc
	global_load_dwordx2 v[9:10], v[8:9], off
	s_branch .LBB2_13
.LBB2_42:                               ;   in Loop: Header=BB2_8 Depth=1
	v_cmp_gt_i32_e32 vcc, s10, v7
	s_and_b64 s[20:21], s[18:19], vcc
	s_and_saveexec_b64 s[6:7], s[20:21]
	s_cbranch_execz .LBB2_7
; %bb.43:                               ;   in Loop: Header=BB2_8 Depth=1
	v_add_u32_e32 v7, s38, v7
	s_and_saveexec_b64 s[20:21], s[26:27]
	s_xor_b64 s[20:21], exec, s[20:21]
	s_cbranch_execz .LBB2_45
; %bb.44:                               ;   in Loop: Header=BB2_8 Depth=1
	v_ashrrev_i32_e32 v8, 31, v7
	v_lshlrev_b64 v[7:8], 3, v[7:8]
	v_mul_f32_e64 v11, v21, -v3
	v_add_co_u32_e32 v7, vcc, v18, v7
	v_addc_co_u32_e32 v8, vcc, v19, v8, vcc
	global_load_dwordx2 v[9:10], v[7:8], off
	v_mul_f32_e32 v22, v2, v21
	v_fmac_f32_e32 v11, v2, v24
	v_fmac_f32_e32 v22, v3, v24
                                        ; implicit-def: $vgpr24
	s_waitcnt vmcnt(0)
	v_fmac_f32_e32 v11, v4, v9
	v_fmac_f32_e32 v22, v5, v9
	v_fma_f32 v21, -v5, v10, v11
	v_fmac_f32_e32 v22, v4, v10
	global_store_dwordx2 v[7:8], v[21:22], off
                                        ; implicit-def: $vgpr21
                                        ; implicit-def: $vgpr7
.LBB2_45:                               ;   in Loop: Header=BB2_8 Depth=1
	s_andn2_saveexec_b64 s[20:21], s[20:21]
	s_cbranch_execz .LBB2_7
; %bb.46:                               ;   in Loop: Header=BB2_8 Depth=1
	v_ashrrev_i32_e32 v8, 31, v7
	v_lshlrev_b64 v[7:8], 3, v[7:8]
	v_mul_f32_e64 v9, v21, -v3
	v_mul_f32_e32 v10, v2, v21
	v_add_co_u32_e32 v7, vcc, v18, v7
	v_fmac_f32_e32 v9, v2, v24
	v_fmac_f32_e32 v10, v3, v24
	v_addc_co_u32_e32 v8, vcc, v19, v8, vcc
	global_store_dwordx2 v[7:8], v[9:10], off
	s_branch .LBB2_7
.LBB2_47:
	s_endpgm
	.section	.rodata,"a",@progbits
	.p2align	6, 0x0
	.amdhsa_kernel _ZN9rocsparseL31gebsrmm_general_blockdim_kernelILi32ELi32E21rocsparse_complex_numIfEEEv20rocsparse_direction_20rocsparse_operation_iiNS_24const_host_device_scalarIT1_EEPKiS9_PKS6_iiSB_lS7_PS6_l21rocsparse_index_base_b
		.amdhsa_group_segment_fixed_size 16384
		.amdhsa_private_segment_fixed_size 0
		.amdhsa_kernarg_size 104
		.amdhsa_user_sgpr_count 6
		.amdhsa_user_sgpr_private_segment_buffer 1
		.amdhsa_user_sgpr_dispatch_ptr 0
		.amdhsa_user_sgpr_queue_ptr 0
		.amdhsa_user_sgpr_kernarg_segment_ptr 1
		.amdhsa_user_sgpr_dispatch_id 0
		.amdhsa_user_sgpr_flat_scratch_init 0
		.amdhsa_user_sgpr_private_segment_size 0
		.amdhsa_uses_dynamic_stack 0
		.amdhsa_system_sgpr_private_segment_wavefront_offset 0
		.amdhsa_system_sgpr_workgroup_id_x 1
		.amdhsa_system_sgpr_workgroup_id_y 1
		.amdhsa_system_sgpr_workgroup_id_z 0
		.amdhsa_system_sgpr_workgroup_info 0
		.amdhsa_system_vgpr_workitem_id 1
		.amdhsa_next_free_vgpr 45
		.amdhsa_next_free_sgpr 61
		.amdhsa_reserve_vcc 1
		.amdhsa_reserve_flat_scratch 0
		.amdhsa_float_round_mode_32 0
		.amdhsa_float_round_mode_16_64 0
		.amdhsa_float_denorm_mode_32 3
		.amdhsa_float_denorm_mode_16_64 3
		.amdhsa_dx10_clamp 1
		.amdhsa_ieee_mode 1
		.amdhsa_fp16_overflow 0
		.amdhsa_exception_fp_ieee_invalid_op 0
		.amdhsa_exception_fp_denorm_src 0
		.amdhsa_exception_fp_ieee_div_zero 0
		.amdhsa_exception_fp_ieee_overflow 0
		.amdhsa_exception_fp_ieee_underflow 0
		.amdhsa_exception_fp_ieee_inexact 0
		.amdhsa_exception_int_div_zero 0
	.end_amdhsa_kernel
	.section	.text._ZN9rocsparseL31gebsrmm_general_blockdim_kernelILi32ELi32E21rocsparse_complex_numIfEEEv20rocsparse_direction_20rocsparse_operation_iiNS_24const_host_device_scalarIT1_EEPKiS9_PKS6_iiSB_lS7_PS6_l21rocsparse_index_base_b,"axG",@progbits,_ZN9rocsparseL31gebsrmm_general_blockdim_kernelILi32ELi32E21rocsparse_complex_numIfEEEv20rocsparse_direction_20rocsparse_operation_iiNS_24const_host_device_scalarIT1_EEPKiS9_PKS6_iiSB_lS7_PS6_l21rocsparse_index_base_b,comdat
.Lfunc_end2:
	.size	_ZN9rocsparseL31gebsrmm_general_blockdim_kernelILi32ELi32E21rocsparse_complex_numIfEEEv20rocsparse_direction_20rocsparse_operation_iiNS_24const_host_device_scalarIT1_EEPKiS9_PKS6_iiSB_lS7_PS6_l21rocsparse_index_base_b, .Lfunc_end2-_ZN9rocsparseL31gebsrmm_general_blockdim_kernelILi32ELi32E21rocsparse_complex_numIfEEEv20rocsparse_direction_20rocsparse_operation_iiNS_24const_host_device_scalarIT1_EEPKiS9_PKS6_iiSB_lS7_PS6_l21rocsparse_index_base_b
                                        ; -- End function
	.set _ZN9rocsparseL31gebsrmm_general_blockdim_kernelILi32ELi32E21rocsparse_complex_numIfEEEv20rocsparse_direction_20rocsparse_operation_iiNS_24const_host_device_scalarIT1_EEPKiS9_PKS6_iiSB_lS7_PS6_l21rocsparse_index_base_b.num_vgpr, 45
	.set _ZN9rocsparseL31gebsrmm_general_blockdim_kernelILi32ELi32E21rocsparse_complex_numIfEEEv20rocsparse_direction_20rocsparse_operation_iiNS_24const_host_device_scalarIT1_EEPKiS9_PKS6_iiSB_lS7_PS6_l21rocsparse_index_base_b.num_agpr, 0
	.set _ZN9rocsparseL31gebsrmm_general_blockdim_kernelILi32ELi32E21rocsparse_complex_numIfEEEv20rocsparse_direction_20rocsparse_operation_iiNS_24const_host_device_scalarIT1_EEPKiS9_PKS6_iiSB_lS7_PS6_l21rocsparse_index_base_b.numbered_sgpr, 46
	.set _ZN9rocsparseL31gebsrmm_general_blockdim_kernelILi32ELi32E21rocsparse_complex_numIfEEEv20rocsparse_direction_20rocsparse_operation_iiNS_24const_host_device_scalarIT1_EEPKiS9_PKS6_iiSB_lS7_PS6_l21rocsparse_index_base_b.num_named_barrier, 0
	.set _ZN9rocsparseL31gebsrmm_general_blockdim_kernelILi32ELi32E21rocsparse_complex_numIfEEEv20rocsparse_direction_20rocsparse_operation_iiNS_24const_host_device_scalarIT1_EEPKiS9_PKS6_iiSB_lS7_PS6_l21rocsparse_index_base_b.private_seg_size, 0
	.set _ZN9rocsparseL31gebsrmm_general_blockdim_kernelILi32ELi32E21rocsparse_complex_numIfEEEv20rocsparse_direction_20rocsparse_operation_iiNS_24const_host_device_scalarIT1_EEPKiS9_PKS6_iiSB_lS7_PS6_l21rocsparse_index_base_b.uses_vcc, 1
	.set _ZN9rocsparseL31gebsrmm_general_blockdim_kernelILi32ELi32E21rocsparse_complex_numIfEEEv20rocsparse_direction_20rocsparse_operation_iiNS_24const_host_device_scalarIT1_EEPKiS9_PKS6_iiSB_lS7_PS6_l21rocsparse_index_base_b.uses_flat_scratch, 0
	.set _ZN9rocsparseL31gebsrmm_general_blockdim_kernelILi32ELi32E21rocsparse_complex_numIfEEEv20rocsparse_direction_20rocsparse_operation_iiNS_24const_host_device_scalarIT1_EEPKiS9_PKS6_iiSB_lS7_PS6_l21rocsparse_index_base_b.has_dyn_sized_stack, 0
	.set _ZN9rocsparseL31gebsrmm_general_blockdim_kernelILi32ELi32E21rocsparse_complex_numIfEEEv20rocsparse_direction_20rocsparse_operation_iiNS_24const_host_device_scalarIT1_EEPKiS9_PKS6_iiSB_lS7_PS6_l21rocsparse_index_base_b.has_recursion, 0
	.set _ZN9rocsparseL31gebsrmm_general_blockdim_kernelILi32ELi32E21rocsparse_complex_numIfEEEv20rocsparse_direction_20rocsparse_operation_iiNS_24const_host_device_scalarIT1_EEPKiS9_PKS6_iiSB_lS7_PS6_l21rocsparse_index_base_b.has_indirect_call, 0
	.section	.AMDGPU.csdata,"",@progbits
; Kernel info:
; codeLenInByte = 2408
; TotalNumSgprs: 50
; NumVgprs: 45
; ScratchSize: 0
; MemoryBound: 0
; FloatMode: 240
; IeeeMode: 1
; LDSByteSize: 16384 bytes/workgroup (compile time only)
; SGPRBlocks: 8
; VGPRBlocks: 11
; NumSGPRsForWavesPerEU: 65
; NumVGPRsForWavesPerEU: 45
; Occupancy: 5
; WaveLimiterHint : 0
; COMPUTE_PGM_RSRC2:SCRATCH_EN: 0
; COMPUTE_PGM_RSRC2:USER_SGPR: 6
; COMPUTE_PGM_RSRC2:TRAP_HANDLER: 0
; COMPUTE_PGM_RSRC2:TGID_X_EN: 1
; COMPUTE_PGM_RSRC2:TGID_Y_EN: 1
; COMPUTE_PGM_RSRC2:TGID_Z_EN: 0
; COMPUTE_PGM_RSRC2:TIDIG_COMP_CNT: 1
	.section	.text._ZN9rocsparseL31gebsrmm_general_blockdim_kernelILi32ELi32E21rocsparse_complex_numIdEEEv20rocsparse_direction_20rocsparse_operation_iiNS_24const_host_device_scalarIT1_EEPKiS9_PKS6_iiSB_lS7_PS6_l21rocsparse_index_base_b,"axG",@progbits,_ZN9rocsparseL31gebsrmm_general_blockdim_kernelILi32ELi32E21rocsparse_complex_numIdEEEv20rocsparse_direction_20rocsparse_operation_iiNS_24const_host_device_scalarIT1_EEPKiS9_PKS6_iiSB_lS7_PS6_l21rocsparse_index_base_b,comdat
	.globl	_ZN9rocsparseL31gebsrmm_general_blockdim_kernelILi32ELi32E21rocsparse_complex_numIdEEEv20rocsparse_direction_20rocsparse_operation_iiNS_24const_host_device_scalarIT1_EEPKiS9_PKS6_iiSB_lS7_PS6_l21rocsparse_index_base_b ; -- Begin function _ZN9rocsparseL31gebsrmm_general_blockdim_kernelILi32ELi32E21rocsparse_complex_numIdEEEv20rocsparse_direction_20rocsparse_operation_iiNS_24const_host_device_scalarIT1_EEPKiS9_PKS6_iiSB_lS7_PS6_l21rocsparse_index_base_b
	.p2align	8
	.type	_ZN9rocsparseL31gebsrmm_general_blockdim_kernelILi32ELi32E21rocsparse_complex_numIdEEEv20rocsparse_direction_20rocsparse_operation_iiNS_24const_host_device_scalarIT1_EEPKiS9_PKS6_iiSB_lS7_PS6_l21rocsparse_index_base_b,@function
_ZN9rocsparseL31gebsrmm_general_blockdim_kernelILi32ELi32E21rocsparse_complex_numIdEEEv20rocsparse_direction_20rocsparse_operation_iiNS_24const_host_device_scalarIT1_EEPKiS9_PKS6_iiSB_lS7_PS6_l21rocsparse_index_base_b: ; @_ZN9rocsparseL31gebsrmm_general_blockdim_kernelILi32ELi32E21rocsparse_complex_numIdEEEv20rocsparse_direction_20rocsparse_operation_iiNS_24const_host_device_scalarIT1_EEPKiS9_PKS6_iiSB_lS7_PS6_l21rocsparse_index_base_b
; %bb.0:
	s_load_dwordx2 s[0:1], s[4:5], 0x10
	s_load_dwordx4 s[8:11], s[4:5], 0x48
	s_load_dwordx2 s[24:25], s[4:5], 0x70
	s_add_u32 s2, s4, 16
	s_addc_u32 s3, s5, 0
	s_add_u32 s12, s4, 0x50
	s_addc_u32 s13, s5, 0
	s_waitcnt lgkmcnt(0)
	s_bitcmp1_b32 s25, 0
	s_cselect_b32 s1, s3, s1
	s_cselect_b32 s0, s2, s0
	v_mov_b32_e32 v2, s0
	v_mov_b32_e32 v3, s1
	flat_load_dwordx4 v[2:5], v[2:3]
	s_cselect_b32 s0, s13, s11
	s_cselect_b32 s1, s12, s10
	v_mov_b32_e32 v6, s1
	v_mov_b32_e32 v7, s0
	flat_load_dwordx4 v[6:9], v[6:7]
	s_waitcnt vmcnt(0) lgkmcnt(0)
	v_cmp_eq_f64_e32 vcc, 0, v[2:3]
	v_cmp_eq_f64_e64 s[0:1], 0, v[4:5]
	s_and_b64 s[10:11], vcc, s[0:1]
	s_mov_b64 s[0:1], -1
	s_and_saveexec_b64 s[2:3], s[10:11]
	s_cbranch_execz .LBB3_2
; %bb.1:
	v_cmp_neq_f64_e32 vcc, 1.0, v[6:7]
	v_cmp_neq_f64_e64 s[0:1], 0, v[8:9]
	s_or_b64 s[0:1], vcc, s[0:1]
	s_orn2_b64 s[0:1], s[0:1], exec
.LBB3_2:
	s_or_b64 exec, exec, s[2:3]
	s_and_saveexec_b64 s[2:3], s[0:1]
	s_cbranch_execz .LBB3_47
; %bb.3:
	s_load_dwordx4 s[16:19], s[4:5], 0x0
	s_mov_b32 s25, 0
	s_mov_b32 s33, 0
	s_waitcnt lgkmcnt(0)
	s_cmp_lt_i32 s6, s18
	s_cselect_b64 s[26:27], -1, 0
	s_cmp_ge_i32 s6, s18
	s_cbranch_scc1 .LBB3_5
; %bb.4:
	s_load_dwordx2 s[2:3], s[4:5], 0x20
	s_mov_b32 s0, s7
	s_ashr_i32 s7, s6, 31
	s_lshl_b64 s[10:11], s[6:7], 2
	s_mov_b32 s7, s0
	s_waitcnt lgkmcnt(0)
	s_add_u32 s0, s2, s10
	s_addc_u32 s1, s3, s11
	s_load_dwordx2 s[2:3], s[0:1], 0x0
	s_waitcnt lgkmcnt(0)
	s_sub_i32 s33, s2, s24
	s_sub_i32 s25, s3, s24
.LBB3_5:
	s_load_dwordx2 s[10:11], s[4:5], 0x38
	s_waitcnt lgkmcnt(0)
	s_cmp_lt_i32 s10, 1
	s_cbranch_scc1 .LBB3_47
; %bb.6:
	s_load_dwordx4 s[20:23], s[4:5], 0x60
	v_lshl_add_u32 v10, s7, 5, v1
	v_ashrrev_i32_e32 v11, 31, v10
	s_load_dwordx4 s[12:15], s[4:5], 0x28
	s_load_dwordx2 s[28:29], s[4:5], 0x40
	v_mul_lo_u32 v18, s8, v11
	s_waitcnt lgkmcnt(0)
	v_mul_lo_u32 v16, s22, v11
	v_mul_lo_u32 v17, s23, v10
	v_mad_u64_u32 v[12:13], s[0:1], s22, v10, 0
	v_mul_lo_u32 v19, s9, v10
	v_mad_u64_u32 v[14:15], s[0:1], s8, v10, 0
	v_add3_u32 v13, v13, v16, v17
	v_lshlrev_b64 v[16:17], 4, v[10:11]
	v_mov_b32_e32 v11, s29
	v_add_co_u32_e32 v22, vcc, s28, v16
	v_addc_co_u32_e32 v23, vcc, v11, v17, vcc
	v_cmp_neq_f64_e32 vcc, 0, v[6:7]
	v_cmp_neq_f64_e64 s[2:3], 0, v[8:9]
	v_add3_u32 v15, v15, v18, v19
	s_cmp_lt_i32 s33, s25
	v_cmp_gt_i32_e64 s[0:1], s19, v10
	v_lshlrev_b64 v[10:11], 4, v[14:15]
	s_mul_i32 s38, s10, s6
	s_cselect_b64 s[6:7], -1, 0
	s_cmp_gt_i32 s11, 0
	s_cselect_b64 s[30:31], -1, 0
	s_cmpk_lg_i32 s17, 0x6f
	v_mov_b32_e32 v14, s29
	v_add_co_u32_e64 v26, s[4:5], s28, v10
	s_cselect_b64 s[22:23], -1, 0
	v_addc_co_u32_e64 v27, s[4:5], v14, v11, s[4:5]
	s_cmp_lg_u32 s16, 0
	v_lshlrev_b64 v[10:11], 4, v[12:13]
	s_cselect_b64 s[16:17], -1, 0
	s_and_b64 s[18:19], s[26:27], s[0:1]
	s_or_b64 s[26:27], vcc, s[2:3]
	s_mul_i32 s2, s33, s10
	v_add_co_u32_e32 v28, vcc, s20, v10
	v_add_u32_e32 v10, s2, v0
	v_mad_u64_u32 v[14:15], s[2:3], s11, v10, v[1:2]
	v_lshlrev_b32_e32 v24, 4, v0
	v_cndmask_b32_e64 v10, 0, 1, s[6:7]
	v_or_b32_e32 v16, 0x4000, v24
	v_lshlrev_b32_e32 v25, 9, v1
	v_mov_b32_e32 v12, s21
	v_cmp_ne_u32_e64 s[2:3], 1, v10
	v_cndmask_b32_e64 v10, 0, 1, s[30:31]
	s_mov_b32 s39, 0
	v_addc_co_u32_e32 v29, vcc, v12, v11, vcc
	s_lshl_b32 s40, s11, 5
	s_mul_i32 s41, s11, s10
	v_cmp_ne_u32_e64 s[4:5], 1, v10
	v_add_u32_e32 v30, v16, v25
	s_branch .LBB3_8
.LBB3_7:                                ;   in Loop: Header=BB3_8 Depth=1
	s_or_b64 exec, exec, s[6:7]
	s_add_i32 s39, s39, 32
	s_cmp_lt_i32 s39, s10
	v_add_u32_e32 v14, s40, v14
	s_cbranch_scc0 .LBB3_47
.LBB3_8:                                ; =>This Loop Header: Depth=1
                                        ;     Child Loop BB3_11 Depth 2
                                        ;       Child Loop BB3_14 Depth 3
	v_add_u32_e32 v15, s39, v0
	v_mov_b32_e32 v16, 0
	v_mov_b32_e32 v18, 0
	;; [unrolled: 1-line block ×3, first 2 shown]
	s_and_b64 vcc, exec, s[2:3]
	v_mov_b32_e32 v19, 0
	v_cmp_gt_i32_e64 s[6:7], s10, v15
	s_cbranch_vccnz .LBB3_42
; %bb.9:                                ;   in Loop: Header=BB3_8 Depth=1
	v_mov_b32_e32 v16, 0
	v_mov_b32_e32 v18, 0
	;; [unrolled: 1-line block ×5, first 2 shown]
	s_mov_b32 s20, s33
	s_branch .LBB3_11
.LBB3_10:                               ;   in Loop: Header=BB3_11 Depth=2
	s_add_i32 s20, s20, 1
	s_cmp_ge_i32 s20, s25
	v_add_u32_e32 v31, s41, v31
	s_cbranch_scc1 .LBB3_42
.LBB3_11:                               ;   Parent Loop BB3_8 Depth=1
                                        ; =>  This Loop Header: Depth=2
                                        ;       Child Loop BB3_14 Depth 3
	s_and_b64 vcc, exec, s[4:5]
	s_cbranch_vccnz .LBB3_10
; %bb.12:                               ;   in Loop: Header=BB3_11 Depth=2
	s_ashr_i32 s21, s20, 31
	s_lshl_b64 s[28:29], s[20:21], 2
	s_add_u32 s28, s12, s28
	s_addc_u32 s29, s13, s29
	s_load_dword s28, s[28:29], 0x0
	s_mul_i32 s21, s20, s11
	s_mov_b32 s42, 0
	s_waitcnt lgkmcnt(0)
	s_sub_i32 s28, s28, s24
	s_mul_i32 s28, s28, s11
	v_add_u32_e32 v32, s28, v0
	s_branch .LBB3_14
.LBB3_13:                               ;   in Loop: Header=BB3_14 Depth=3
	s_or_b64 exec, exec, s[30:31]
	v_add_u32_e32 v20, v24, v25
	s_waitcnt vmcnt(0)
	ds_write_b128 v20, v[10:13]
	s_waitcnt lgkmcnt(0)
	s_barrier
	ds_read_b128 v[10:13], v24
	ds_read_b128 v[33:36], v25 offset:16384
	ds_read_b128 v[37:40], v25 offset:16400
	;; [unrolled: 1-line block ×3, first 2 shown]
	s_add_i32 s42, s42, 32
	s_cmp_ge_i32 s42, s11
	s_waitcnt lgkmcnt(2)
	v_fma_f64 v[18:19], v[10:11], v[33:34], v[18:19]
	v_fma_f64 v[16:17], v[12:13], v[33:34], v[16:17]
	v_fma_f64 v[12:13], -v[12:13], v[35:36], v[18:19]
	v_fma_f64 v[10:11], v[10:11], v[35:36], v[16:17]
	s_waitcnt lgkmcnt(0)
	v_fma_f64 v[12:13], v[41:42], v[37:38], v[12:13]
	v_fma_f64 v[10:11], v[43:44], v[37:38], v[10:11]
	v_fma_f64 v[20:21], -v[43:44], v[39:40], v[12:13]
	v_fma_f64 v[41:42], v[41:42], v[39:40], v[10:11]
	ds_read_b128 v[10:13], v24 offset:1024
	ds_read_b128 v[16:19], v25 offset:16416
	ds_read_b128 v[33:36], v25 offset:16432
	ds_read_b128 v[37:40], v24 offset:1536
	s_waitcnt lgkmcnt(2)
	v_fma_f64 v[20:21], v[10:11], v[16:17], v[20:21]
	v_fma_f64 v[16:17], v[12:13], v[16:17], v[41:42]
	v_fma_f64 v[12:13], -v[12:13], v[18:19], v[20:21]
	v_fma_f64 v[10:11], v[10:11], v[18:19], v[16:17]
	s_waitcnt lgkmcnt(0)
	v_fma_f64 v[12:13], v[37:38], v[33:34], v[12:13]
	v_fma_f64 v[10:11], v[39:40], v[33:34], v[10:11]
	v_fma_f64 v[20:21], -v[39:40], v[35:36], v[12:13]
	v_fma_f64 v[41:42], v[37:38], v[35:36], v[10:11]
	ds_read_b128 v[10:13], v25 offset:16448
	ds_read_b128 v[16:19], v24 offset:2048
	ds_read_b128 v[33:36], v24 offset:2560
	ds_read_b128 v[37:40], v25 offset:16464
	;; [unrolled: 14-line block ×15, first 2 shown]
	s_waitcnt lgkmcnt(0)
	s_barrier
	v_fma_f64 v[20:21], v[16:17], v[10:11], v[20:21]
	v_fma_f64 v[10:11], v[18:19], v[10:11], v[41:42]
	v_fma_f64 v[18:19], -v[18:19], v[12:13], v[20:21]
	v_fma_f64 v[10:11], v[16:17], v[12:13], v[10:11]
	v_fma_f64 v[12:13], v[33:34], v[37:38], v[18:19]
	;; [unrolled: 1-line block ×3, first 2 shown]
	v_fma_f64 v[18:19], -v[35:36], v[39:40], v[12:13]
	v_fma_f64 v[16:17], v[33:34], v[39:40], v[10:11]
	s_cbranch_scc1 .LBB3_10
.LBB3_14:                               ;   Parent Loop BB3_8 Depth=1
                                        ;     Parent Loop BB3_11 Depth=2
                                        ; =>    This Inner Loop Header: Depth=3
	s_and_b64 vcc, exec, s[22:23]
	s_cbranch_vccz .LBB3_20
; %bb.15:                               ;   in Loop: Header=BB3_14 Depth=3
	s_mov_b64 s[30:31], 0
	s_mov_b64 s[28:29], 0
                                        ; implicit-def: $vgpr20_vgpr21
	s_and_saveexec_b64 s[34:35], s[0:1]
	s_cbranch_execz .LBB3_19
; %bb.16:                               ;   in Loop: Header=BB3_14 Depth=3
	v_add_u32_e32 v10, s42, v0
	v_cmp_gt_i32_e32 vcc, s11, v10
                                        ; implicit-def: $vgpr20_vgpr21
	s_and_saveexec_b64 s[36:37], vcc
	s_xor_b64 s[36:37], exec, s[36:37]
	s_cbranch_execz .LBB3_18
; %bb.17:                               ;   in Loop: Header=BB3_14 Depth=3
	v_add_u32_e32 v10, s42, v32
	v_ashrrev_i32_e32 v11, 31, v10
	v_mul_lo_u32 v12, s8, v11
	v_mul_lo_u32 v13, s9, v10
	v_mad_u64_u32 v[10:11], s[44:45], s8, v10, 0
	s_mov_b64 s[28:29], exec
	v_add3_u32 v11, v11, v12, v13
	v_lshlrev_b64 v[10:11], 4, v[10:11]
	v_add_co_u32_e32 v20, vcc, v22, v10
	v_addc_co_u32_e32 v21, vcc, v23, v11, vcc
.LBB3_18:                               ;   in Loop: Header=BB3_14 Depth=3
	s_or_b64 exec, exec, s[36:37]
	s_and_b64 s[28:29], s[28:29], exec
.LBB3_19:                               ;   in Loop: Header=BB3_14 Depth=3
	s_or_b64 exec, exec, s[34:35]
	s_and_b64 vcc, exec, s[30:31]
	s_cbranch_vccnz .LBB3_21
	s_branch .LBB3_26
.LBB3_20:                               ;   in Loop: Header=BB3_14 Depth=3
	s_mov_b64 s[28:29], 0
                                        ; implicit-def: $vgpr20_vgpr21
	s_cbranch_execz .LBB3_26
.LBB3_21:                               ;   in Loop: Header=BB3_14 Depth=3
                                        ; implicit-def: $vgpr20_vgpr21
	s_and_saveexec_b64 s[30:31], s[0:1]
	s_cbranch_execz .LBB3_25
; %bb.22:                               ;   in Loop: Header=BB3_14 Depth=3
	v_add_u32_e32 v10, s42, v0
	v_cmp_gt_i32_e32 vcc, s11, v10
	s_mov_b64 s[36:37], s[28:29]
                                        ; implicit-def: $vgpr20_vgpr21
	s_and_saveexec_b64 s[34:35], vcc
; %bb.23:                               ;   in Loop: Header=BB3_14 Depth=3
	v_add_u32_e32 v10, s42, v32
	v_ashrrev_i32_e32 v11, 31, v10
	v_lshlrev_b64 v[10:11], 4, v[10:11]
	s_or_b64 s[36:37], s[28:29], exec
	v_add_co_u32_e32 v20, vcc, v26, v10
	v_addc_co_u32_e32 v21, vcc, v27, v11, vcc
; %bb.24:                               ;   in Loop: Header=BB3_14 Depth=3
	s_or_b64 exec, exec, s[34:35]
	s_andn2_b64 s[28:29], s[28:29], exec
	s_and_b64 s[34:35], s[36:37], exec
	s_or_b64 s[28:29], s[28:29], s[34:35]
.LBB3_25:                               ;   in Loop: Header=BB3_14 Depth=3
	s_or_b64 exec, exec, s[30:31]
.LBB3_26:                               ;   in Loop: Header=BB3_14 Depth=3
	v_mov_b32_e32 v10, 0
	v_mov_b32_e32 v12, 0
	;; [unrolled: 1-line block ×4, first 2 shown]
	s_and_saveexec_b64 s[30:31], s[28:29]
	s_cbranch_execz .LBB3_28
; %bb.27:                               ;   in Loop: Header=BB3_14 Depth=3
	global_load_dwordx4 v[10:13], v[20:21], off
.LBB3_28:                               ;   in Loop: Header=BB3_14 Depth=3
	s_or_b64 exec, exec, s[30:31]
	s_and_b64 vcc, exec, s[16:17]
	s_waitcnt vmcnt(0)
	ds_write_b128 v30, v[10:13]
	s_cbranch_vccz .LBB3_34
; %bb.29:                               ;   in Loop: Header=BB3_14 Depth=3
	s_mov_b64 s[30:31], 0
	s_mov_b64 s[28:29], 0
                                        ; implicit-def: $vgpr20
	s_and_saveexec_b64 s[34:35], s[6:7]
	s_cbranch_execz .LBB3_33
; %bb.30:                               ;   in Loop: Header=BB3_14 Depth=3
	v_add_u32_e32 v10, s42, v1
	v_cmp_gt_i32_e32 vcc, s11, v10
                                        ; implicit-def: $vgpr20
	s_and_saveexec_b64 s[36:37], vcc
	s_xor_b64 s[36:37], exec, s[36:37]
; %bb.31:                               ;   in Loop: Header=BB3_14 Depth=3
	v_add_u32_e32 v10, s21, v10
	s_mov_b64 s[28:29], exec
	v_mad_u64_u32 v[20:21], s[44:45], v10, s10, v[15:16]
; %bb.32:                               ;   in Loop: Header=BB3_14 Depth=3
	s_or_b64 exec, exec, s[36:37]
	s_and_b64 s[28:29], s[28:29], exec
.LBB3_33:                               ;   in Loop: Header=BB3_14 Depth=3
	s_or_b64 exec, exec, s[34:35]
	s_and_b64 vcc, exec, s[30:31]
	s_cbranch_vccnz .LBB3_35
	s_branch .LBB3_40
.LBB3_34:                               ;   in Loop: Header=BB3_14 Depth=3
	s_mov_b64 s[28:29], 0
                                        ; implicit-def: $vgpr20
	s_cbranch_execz .LBB3_40
.LBB3_35:                               ;   in Loop: Header=BB3_14 Depth=3
                                        ; implicit-def: $vgpr20
	s_and_saveexec_b64 s[30:31], s[6:7]
	s_cbranch_execz .LBB3_39
; %bb.36:                               ;   in Loop: Header=BB3_14 Depth=3
	v_add_u32_e32 v10, s42, v1
	v_cmp_gt_i32_e32 vcc, s11, v10
	s_mov_b64 s[34:35], s[28:29]
                                        ; implicit-def: $vgpr20
	s_and_saveexec_b64 s[36:37], vcc
; %bb.37:                               ;   in Loop: Header=BB3_14 Depth=3
	v_add_u32_e32 v20, s42, v31
	s_or_b64 s[34:35], s[28:29], exec
; %bb.38:                               ;   in Loop: Header=BB3_14 Depth=3
	s_or_b64 exec, exec, s[36:37]
	s_andn2_b64 s[28:29], s[28:29], exec
	s_and_b64 s[34:35], s[34:35], exec
	s_or_b64 s[28:29], s[28:29], s[34:35]
.LBB3_39:                               ;   in Loop: Header=BB3_14 Depth=3
	s_or_b64 exec, exec, s[30:31]
.LBB3_40:                               ;   in Loop: Header=BB3_14 Depth=3
	v_mov_b32_e32 v10, 0
	v_mov_b32_e32 v12, 0
	;; [unrolled: 1-line block ×4, first 2 shown]
	s_and_saveexec_b64 s[30:31], s[28:29]
	s_cbranch_execz .LBB3_13
; %bb.41:                               ;   in Loop: Header=BB3_14 Depth=3
	v_ashrrev_i32_e32 v21, 31, v20
	v_lshlrev_b64 v[10:11], 4, v[20:21]
	v_mov_b32_e32 v12, s15
	v_add_co_u32_e32 v10, vcc, s14, v10
	v_addc_co_u32_e32 v11, vcc, v12, v11, vcc
	global_load_dwordx4 v[10:13], v[10:11], off
	s_branch .LBB3_13
.LBB3_42:                               ;   in Loop: Header=BB3_8 Depth=1
	v_cmp_gt_i32_e32 vcc, s10, v15
	s_and_b64 s[20:21], s[18:19], vcc
	s_and_saveexec_b64 s[6:7], s[20:21]
	s_cbranch_execz .LBB3_7
; %bb.43:                               ;   in Loop: Header=BB3_8 Depth=1
	v_add_u32_e32 v10, s38, v15
	s_and_saveexec_b64 s[20:21], s[26:27]
	s_xor_b64 s[20:21], exec, s[20:21]
	s_cbranch_execz .LBB3_45
; %bb.44:                               ;   in Loop: Header=BB3_8 Depth=1
	v_ashrrev_i32_e32 v11, 31, v10
	v_lshlrev_b64 v[10:11], 4, v[10:11]
	v_mul_f64 v[31:32], v[16:17], -v[4:5]
	v_add_co_u32_e32 v20, vcc, v28, v10
	v_addc_co_u32_e32 v21, vcc, v29, v11, vcc
	global_load_dwordx4 v[10:13], v[20:21], off
	v_mul_f64 v[15:16], v[2:3], v[16:17]
	v_fma_f64 v[31:32], v[2:3], v[18:19], v[31:32]
	v_fma_f64 v[15:16], v[4:5], v[18:19], v[15:16]
	s_waitcnt vmcnt(0)
	v_fma_f64 v[17:18], v[6:7], v[10:11], v[31:32]
	v_fma_f64 v[15:16], v[8:9], v[10:11], v[15:16]
	v_fma_f64 v[10:11], -v[8:9], v[12:13], v[17:18]
	v_fma_f64 v[12:13], v[6:7], v[12:13], v[15:16]
                                        ; implicit-def: $vgpr16_vgpr17
                                        ; implicit-def: $vgpr18_vgpr19
	global_store_dwordx4 v[20:21], v[10:13], off
                                        ; implicit-def: $vgpr10
.LBB3_45:                               ;   in Loop: Header=BB3_8 Depth=1
	s_andn2_saveexec_b64 s[20:21], s[20:21]
	s_cbranch_execz .LBB3_7
; %bb.46:                               ;   in Loop: Header=BB3_8 Depth=1
	v_mul_f64 v[11:12], v[16:17], -v[4:5]
	v_mul_f64 v[20:21], v[2:3], v[16:17]
	v_fma_f64 v[15:16], v[2:3], v[18:19], v[11:12]
	v_fma_f64 v[17:18], v[4:5], v[18:19], v[20:21]
	v_ashrrev_i32_e32 v11, 31, v10
	v_lshlrev_b64 v[10:11], 4, v[10:11]
	v_add_co_u32_e32 v10, vcc, v28, v10
	v_addc_co_u32_e32 v11, vcc, v29, v11, vcc
	global_store_dwordx4 v[10:11], v[15:18], off
	s_branch .LBB3_7
.LBB3_47:
	s_endpgm
	.section	.rodata,"a",@progbits
	.p2align	6, 0x0
	.amdhsa_kernel _ZN9rocsparseL31gebsrmm_general_blockdim_kernelILi32ELi32E21rocsparse_complex_numIdEEEv20rocsparse_direction_20rocsparse_operation_iiNS_24const_host_device_scalarIT1_EEPKiS9_PKS6_iiSB_lS7_PS6_l21rocsparse_index_base_b
		.amdhsa_group_segment_fixed_size 32768
		.amdhsa_private_segment_fixed_size 0
		.amdhsa_kernarg_size 120
		.amdhsa_user_sgpr_count 6
		.amdhsa_user_sgpr_private_segment_buffer 1
		.amdhsa_user_sgpr_dispatch_ptr 0
		.amdhsa_user_sgpr_queue_ptr 0
		.amdhsa_user_sgpr_kernarg_segment_ptr 1
		.amdhsa_user_sgpr_dispatch_id 0
		.amdhsa_user_sgpr_flat_scratch_init 0
		.amdhsa_user_sgpr_private_segment_size 0
		.amdhsa_uses_dynamic_stack 0
		.amdhsa_system_sgpr_private_segment_wavefront_offset 0
		.amdhsa_system_sgpr_workgroup_id_x 1
		.amdhsa_system_sgpr_workgroup_id_y 1
		.amdhsa_system_sgpr_workgroup_id_z 0
		.amdhsa_system_sgpr_workgroup_info 0
		.amdhsa_system_vgpr_workitem_id 1
		.amdhsa_next_free_vgpr 45
		.amdhsa_next_free_sgpr 61
		.amdhsa_reserve_vcc 1
		.amdhsa_reserve_flat_scratch 0
		.amdhsa_float_round_mode_32 0
		.amdhsa_float_round_mode_16_64 0
		.amdhsa_float_denorm_mode_32 3
		.amdhsa_float_denorm_mode_16_64 3
		.amdhsa_dx10_clamp 1
		.amdhsa_ieee_mode 1
		.amdhsa_fp16_overflow 0
		.amdhsa_exception_fp_ieee_invalid_op 0
		.amdhsa_exception_fp_denorm_src 0
		.amdhsa_exception_fp_ieee_div_zero 0
		.amdhsa_exception_fp_ieee_overflow 0
		.amdhsa_exception_fp_ieee_underflow 0
		.amdhsa_exception_fp_ieee_inexact 0
		.amdhsa_exception_int_div_zero 0
	.end_amdhsa_kernel
	.section	.text._ZN9rocsparseL31gebsrmm_general_blockdim_kernelILi32ELi32E21rocsparse_complex_numIdEEEv20rocsparse_direction_20rocsparse_operation_iiNS_24const_host_device_scalarIT1_EEPKiS9_PKS6_iiSB_lS7_PS6_l21rocsparse_index_base_b,"axG",@progbits,_ZN9rocsparseL31gebsrmm_general_blockdim_kernelILi32ELi32E21rocsparse_complex_numIdEEEv20rocsparse_direction_20rocsparse_operation_iiNS_24const_host_device_scalarIT1_EEPKiS9_PKS6_iiSB_lS7_PS6_l21rocsparse_index_base_b,comdat
.Lfunc_end3:
	.size	_ZN9rocsparseL31gebsrmm_general_blockdim_kernelILi32ELi32E21rocsparse_complex_numIdEEEv20rocsparse_direction_20rocsparse_operation_iiNS_24const_host_device_scalarIT1_EEPKiS9_PKS6_iiSB_lS7_PS6_l21rocsparse_index_base_b, .Lfunc_end3-_ZN9rocsparseL31gebsrmm_general_blockdim_kernelILi32ELi32E21rocsparse_complex_numIdEEEv20rocsparse_direction_20rocsparse_operation_iiNS_24const_host_device_scalarIT1_EEPKiS9_PKS6_iiSB_lS7_PS6_l21rocsparse_index_base_b
                                        ; -- End function
	.set _ZN9rocsparseL31gebsrmm_general_blockdim_kernelILi32ELi32E21rocsparse_complex_numIdEEEv20rocsparse_direction_20rocsparse_operation_iiNS_24const_host_device_scalarIT1_EEPKiS9_PKS6_iiSB_lS7_PS6_l21rocsparse_index_base_b.num_vgpr, 45
	.set _ZN9rocsparseL31gebsrmm_general_blockdim_kernelILi32ELi32E21rocsparse_complex_numIdEEEv20rocsparse_direction_20rocsparse_operation_iiNS_24const_host_device_scalarIT1_EEPKiS9_PKS6_iiSB_lS7_PS6_l21rocsparse_index_base_b.num_agpr, 0
	.set _ZN9rocsparseL31gebsrmm_general_blockdim_kernelILi32ELi32E21rocsparse_complex_numIdEEEv20rocsparse_direction_20rocsparse_operation_iiNS_24const_host_device_scalarIT1_EEPKiS9_PKS6_iiSB_lS7_PS6_l21rocsparse_index_base_b.numbered_sgpr, 46
	.set _ZN9rocsparseL31gebsrmm_general_blockdim_kernelILi32ELi32E21rocsparse_complex_numIdEEEv20rocsparse_direction_20rocsparse_operation_iiNS_24const_host_device_scalarIT1_EEPKiS9_PKS6_iiSB_lS7_PS6_l21rocsparse_index_base_b.num_named_barrier, 0
	.set _ZN9rocsparseL31gebsrmm_general_blockdim_kernelILi32ELi32E21rocsparse_complex_numIdEEEv20rocsparse_direction_20rocsparse_operation_iiNS_24const_host_device_scalarIT1_EEPKiS9_PKS6_iiSB_lS7_PS6_l21rocsparse_index_base_b.private_seg_size, 0
	.set _ZN9rocsparseL31gebsrmm_general_blockdim_kernelILi32ELi32E21rocsparse_complex_numIdEEEv20rocsparse_direction_20rocsparse_operation_iiNS_24const_host_device_scalarIT1_EEPKiS9_PKS6_iiSB_lS7_PS6_l21rocsparse_index_base_b.uses_vcc, 1
	.set _ZN9rocsparseL31gebsrmm_general_blockdim_kernelILi32ELi32E21rocsparse_complex_numIdEEEv20rocsparse_direction_20rocsparse_operation_iiNS_24const_host_device_scalarIT1_EEPKiS9_PKS6_iiSB_lS7_PS6_l21rocsparse_index_base_b.uses_flat_scratch, 0
	.set _ZN9rocsparseL31gebsrmm_general_blockdim_kernelILi32ELi32E21rocsparse_complex_numIdEEEv20rocsparse_direction_20rocsparse_operation_iiNS_24const_host_device_scalarIT1_EEPKiS9_PKS6_iiSB_lS7_PS6_l21rocsparse_index_base_b.has_dyn_sized_stack, 0
	.set _ZN9rocsparseL31gebsrmm_general_blockdim_kernelILi32ELi32E21rocsparse_complex_numIdEEEv20rocsparse_direction_20rocsparse_operation_iiNS_24const_host_device_scalarIT1_EEPKiS9_PKS6_iiSB_lS7_PS6_l21rocsparse_index_base_b.has_recursion, 0
	.set _ZN9rocsparseL31gebsrmm_general_blockdim_kernelILi32ELi32E21rocsparse_complex_numIdEEEv20rocsparse_direction_20rocsparse_operation_iiNS_24const_host_device_scalarIT1_EEPKiS9_PKS6_iiSB_lS7_PS6_l21rocsparse_index_base_b.has_indirect_call, 0
	.section	.AMDGPU.csdata,"",@progbits
; Kernel info:
; codeLenInByte = 3128
; TotalNumSgprs: 50
; NumVgprs: 45
; ScratchSize: 0
; MemoryBound: 1
; FloatMode: 240
; IeeeMode: 1
; LDSByteSize: 32768 bytes/workgroup (compile time only)
; SGPRBlocks: 8
; VGPRBlocks: 11
; NumSGPRsForWavesPerEU: 65
; NumVGPRsForWavesPerEU: 45
; Occupancy: 5
; WaveLimiterHint : 0
; COMPUTE_PGM_RSRC2:SCRATCH_EN: 0
; COMPUTE_PGM_RSRC2:USER_SGPR: 6
; COMPUTE_PGM_RSRC2:TRAP_HANDLER: 0
; COMPUTE_PGM_RSRC2:TGID_X_EN: 1
; COMPUTE_PGM_RSRC2:TGID_Y_EN: 1
; COMPUTE_PGM_RSRC2:TGID_Z_EN: 0
; COMPUTE_PGM_RSRC2:TIDIG_COMP_CNT: 1
	.section	.AMDGPU.gpr_maximums,"",@progbits
	.set amdgpu.max_num_vgpr, 0
	.set amdgpu.max_num_agpr, 0
	.set amdgpu.max_num_sgpr, 0
	.section	.AMDGPU.csdata,"",@progbits
	.type	__hip_cuid_9f1d029ff95e7be5,@object ; @__hip_cuid_9f1d029ff95e7be5
	.section	.bss,"aw",@nobits
	.globl	__hip_cuid_9f1d029ff95e7be5
__hip_cuid_9f1d029ff95e7be5:
	.byte	0                               ; 0x0
	.size	__hip_cuid_9f1d029ff95e7be5, 1

	.ident	"AMD clang version 22.0.0git (https://github.com/RadeonOpenCompute/llvm-project roc-7.2.4 26084 f58b06dce1f9c15707c5f808fd002e18c2accf7e)"
	.section	".note.GNU-stack","",@progbits
	.addrsig
	.addrsig_sym __hip_cuid_9f1d029ff95e7be5
	.amdgpu_metadata
---
amdhsa.kernels:
  - .args:
      - .offset:         0
        .size:           4
        .value_kind:     by_value
      - .offset:         4
        .size:           4
        .value_kind:     by_value
      - .offset:         8
        .size:           4
        .value_kind:     by_value
      - .offset:         12
        .size:           4
        .value_kind:     by_value
      - .offset:         16
        .size:           8
        .value_kind:     by_value
      - .actual_access:  read_only
        .address_space:  global
        .offset:         24
        .size:           8
        .value_kind:     global_buffer
      - .actual_access:  read_only
        .address_space:  global
        .offset:         32
        .size:           8
        .value_kind:     global_buffer
      - .actual_access:  read_only
        .address_space:  global
        .offset:         40
        .size:           8
        .value_kind:     global_buffer
      - .offset:         48
        .size:           4
        .value_kind:     by_value
      - .offset:         52
        .size:           4
        .value_kind:     by_value
      - .actual_access:  read_only
        .address_space:  global
        .offset:         56
        .size:           8
        .value_kind:     global_buffer
      - .offset:         64
        .size:           8
        .value_kind:     by_value
      - .offset:         72
        .size:           8
        .value_kind:     by_value
      - .address_space:  global
        .offset:         80
        .size:           8
        .value_kind:     global_buffer
      - .offset:         88
        .size:           8
        .value_kind:     by_value
      - .offset:         96
        .size:           4
        .value_kind:     by_value
      - .offset:         100
        .size:           1
        .value_kind:     by_value
    .group_segment_fixed_size: 8192
    .kernarg_segment_align: 8
    .kernarg_segment_size: 104
    .language:       OpenCL C
    .language_version:
      - 2
      - 0
    .max_flat_workgroup_size: 1024
    .name:           _ZN9rocsparseL31gebsrmm_general_blockdim_kernelILi32ELi32EfEEv20rocsparse_direction_20rocsparse_operation_iiNS_24const_host_device_scalarIT1_EEPKiS7_PKS4_iiS9_lS5_PS4_l21rocsparse_index_base_b
    .private_segment_fixed_size: 0
    .sgpr_count:     52
    .sgpr_spill_count: 0
    .symbol:         _ZN9rocsparseL31gebsrmm_general_blockdim_kernelILi32ELi32EfEEv20rocsparse_direction_20rocsparse_operation_iiNS_24const_host_device_scalarIT1_EEPKiS7_PKS4_iiS9_lS5_PS4_l21rocsparse_index_base_b.kd
    .uniform_work_group_size: 1
    .uses_dynamic_stack: false
    .vgpr_count:     38
    .vgpr_spill_count: 0
    .wavefront_size: 64
  - .args:
      - .offset:         0
        .size:           4
        .value_kind:     by_value
      - .offset:         4
        .size:           4
        .value_kind:     by_value
      - .offset:         8
        .size:           4
        .value_kind:     by_value
      - .offset:         12
        .size:           4
        .value_kind:     by_value
      - .offset:         16
        .size:           8
        .value_kind:     by_value
      - .actual_access:  read_only
        .address_space:  global
        .offset:         24
        .size:           8
        .value_kind:     global_buffer
      - .actual_access:  read_only
        .address_space:  global
        .offset:         32
        .size:           8
        .value_kind:     global_buffer
      - .actual_access:  read_only
        .address_space:  global
        .offset:         40
        .size:           8
        .value_kind:     global_buffer
      - .offset:         48
        .size:           4
        .value_kind:     by_value
      - .offset:         52
        .size:           4
        .value_kind:     by_value
      - .actual_access:  read_only
        .address_space:  global
        .offset:         56
        .size:           8
        .value_kind:     global_buffer
      - .offset:         64
        .size:           8
        .value_kind:     by_value
      - .offset:         72
        .size:           8
        .value_kind:     by_value
      - .address_space:  global
        .offset:         80
        .size:           8
        .value_kind:     global_buffer
      - .offset:         88
        .size:           8
        .value_kind:     by_value
      - .offset:         96
        .size:           4
        .value_kind:     by_value
      - .offset:         100
        .size:           1
        .value_kind:     by_value
    .group_segment_fixed_size: 16384
    .kernarg_segment_align: 8
    .kernarg_segment_size: 104
    .language:       OpenCL C
    .language_version:
      - 2
      - 0
    .max_flat_workgroup_size: 1024
    .name:           _ZN9rocsparseL31gebsrmm_general_blockdim_kernelILi32ELi32EdEEv20rocsparse_direction_20rocsparse_operation_iiNS_24const_host_device_scalarIT1_EEPKiS7_PKS4_iiS9_lS5_PS4_l21rocsparse_index_base_b
    .private_segment_fixed_size: 0
    .sgpr_count:     50
    .sgpr_spill_count: 0
    .symbol:         _ZN9rocsparseL31gebsrmm_general_blockdim_kernelILi32ELi32EdEEv20rocsparse_direction_20rocsparse_operation_iiNS_24const_host_device_scalarIT1_EEPKiS7_PKS4_iiS9_lS5_PS4_l21rocsparse_index_base_b.kd
    .uniform_work_group_size: 1
    .uses_dynamic_stack: false
    .vgpr_count:     36
    .vgpr_spill_count: 0
    .wavefront_size: 64
  - .args:
      - .offset:         0
        .size:           4
        .value_kind:     by_value
      - .offset:         4
        .size:           4
        .value_kind:     by_value
      - .offset:         8
        .size:           4
        .value_kind:     by_value
      - .offset:         12
        .size:           4
        .value_kind:     by_value
      - .offset:         16
        .size:           8
        .value_kind:     by_value
      - .actual_access:  read_only
        .address_space:  global
        .offset:         24
        .size:           8
        .value_kind:     global_buffer
      - .actual_access:  read_only
        .address_space:  global
        .offset:         32
        .size:           8
        .value_kind:     global_buffer
      - .actual_access:  read_only
        .address_space:  global
        .offset:         40
        .size:           8
        .value_kind:     global_buffer
      - .offset:         48
        .size:           4
        .value_kind:     by_value
      - .offset:         52
        .size:           4
        .value_kind:     by_value
      - .actual_access:  read_only
        .address_space:  global
        .offset:         56
        .size:           8
        .value_kind:     global_buffer
      - .offset:         64
        .size:           8
        .value_kind:     by_value
      - .offset:         72
        .size:           8
        .value_kind:     by_value
      - .address_space:  global
        .offset:         80
        .size:           8
        .value_kind:     global_buffer
      - .offset:         88
        .size:           8
        .value_kind:     by_value
      - .offset:         96
        .size:           4
        .value_kind:     by_value
      - .offset:         100
        .size:           1
        .value_kind:     by_value
    .group_segment_fixed_size: 16384
    .kernarg_segment_align: 8
    .kernarg_segment_size: 104
    .language:       OpenCL C
    .language_version:
      - 2
      - 0
    .max_flat_workgroup_size: 1024
    .name:           _ZN9rocsparseL31gebsrmm_general_blockdim_kernelILi32ELi32E21rocsparse_complex_numIfEEEv20rocsparse_direction_20rocsparse_operation_iiNS_24const_host_device_scalarIT1_EEPKiS9_PKS6_iiSB_lS7_PS6_l21rocsparse_index_base_b
    .private_segment_fixed_size: 0
    .sgpr_count:     50
    .sgpr_spill_count: 0
    .symbol:         _ZN9rocsparseL31gebsrmm_general_blockdim_kernelILi32ELi32E21rocsparse_complex_numIfEEEv20rocsparse_direction_20rocsparse_operation_iiNS_24const_host_device_scalarIT1_EEPKiS9_PKS6_iiSB_lS7_PS6_l21rocsparse_index_base_b.kd
    .uniform_work_group_size: 1
    .uses_dynamic_stack: false
    .vgpr_count:     45
    .vgpr_spill_count: 0
    .wavefront_size: 64
  - .args:
      - .offset:         0
        .size:           4
        .value_kind:     by_value
      - .offset:         4
        .size:           4
        .value_kind:     by_value
      - .offset:         8
        .size:           4
        .value_kind:     by_value
      - .offset:         12
        .size:           4
        .value_kind:     by_value
      - .offset:         16
        .size:           16
        .value_kind:     by_value
      - .actual_access:  read_only
        .address_space:  global
        .offset:         32
        .size:           8
        .value_kind:     global_buffer
      - .actual_access:  read_only
        .address_space:  global
        .offset:         40
        .size:           8
        .value_kind:     global_buffer
      - .actual_access:  read_only
        .address_space:  global
        .offset:         48
        .size:           8
        .value_kind:     global_buffer
      - .offset:         56
        .size:           4
        .value_kind:     by_value
      - .offset:         60
        .size:           4
        .value_kind:     by_value
      - .actual_access:  read_only
        .address_space:  global
        .offset:         64
        .size:           8
        .value_kind:     global_buffer
      - .offset:         72
        .size:           8
        .value_kind:     by_value
      - .offset:         80
        .size:           16
        .value_kind:     by_value
      - .address_space:  global
        .offset:         96
        .size:           8
        .value_kind:     global_buffer
      - .offset:         104
        .size:           8
        .value_kind:     by_value
      - .offset:         112
        .size:           4
        .value_kind:     by_value
      - .offset:         116
        .size:           1
        .value_kind:     by_value
    .group_segment_fixed_size: 32768
    .kernarg_segment_align: 8
    .kernarg_segment_size: 120
    .language:       OpenCL C
    .language_version:
      - 2
      - 0
    .max_flat_workgroup_size: 1024
    .name:           _ZN9rocsparseL31gebsrmm_general_blockdim_kernelILi32ELi32E21rocsparse_complex_numIdEEEv20rocsparse_direction_20rocsparse_operation_iiNS_24const_host_device_scalarIT1_EEPKiS9_PKS6_iiSB_lS7_PS6_l21rocsparse_index_base_b
    .private_segment_fixed_size: 0
    .sgpr_count:     50
    .sgpr_spill_count: 0
    .symbol:         _ZN9rocsparseL31gebsrmm_general_blockdim_kernelILi32ELi32E21rocsparse_complex_numIdEEEv20rocsparse_direction_20rocsparse_operation_iiNS_24const_host_device_scalarIT1_EEPKiS9_PKS6_iiSB_lS7_PS6_l21rocsparse_index_base_b.kd
    .uniform_work_group_size: 1
    .uses_dynamic_stack: false
    .vgpr_count:     45
    .vgpr_spill_count: 0
    .wavefront_size: 64
amdhsa.target:   amdgcn-amd-amdhsa--gfx906
amdhsa.version:
  - 1
  - 2
...

	.end_amdgpu_metadata
